;; amdgpu-corpus repo=pytorch/pytorch kind=compiled arch=gfx942 opt=O3
	.text
	.amdgcn_target "amdgcn-amd-amdhsa--gfx942"
	.amdhsa_code_object_version 6
	.section	.text._ZN2at4cuda3cub15calc_block_sumsILi512ELi16ELb0EhhEEvPKT2_PT3_li,"axG",@progbits,_ZN2at4cuda3cub15calc_block_sumsILi512ELi16ELb0EhhEEvPKT2_PT3_li,comdat
	.protected	_ZN2at4cuda3cub15calc_block_sumsILi512ELi16ELb0EhhEEvPKT2_PT3_li ; -- Begin function _ZN2at4cuda3cub15calc_block_sumsILi512ELi16ELb0EhhEEvPKT2_PT3_li
	.globl	_ZN2at4cuda3cub15calc_block_sumsILi512ELi16ELb0EhhEEvPKT2_PT3_li
	.p2align	8
	.type	_ZN2at4cuda3cub15calc_block_sumsILi512ELi16ELb0EhhEEvPKT2_PT3_li,@function
_ZN2at4cuda3cub15calc_block_sumsILi512ELi16ELb0EhhEEvPKT2_PT3_li: ; @_ZN2at4cuda3cub15calc_block_sumsILi512ELi16ELb0EhhEEvPKT2_PT3_li
; %bb.0:
	s_load_dword s3, s[0:1], 0x18
	s_load_dwordx2 s[8:9], s[0:1], 0x10
	s_waitcnt lgkmcnt(0)
	s_lshl_b32 s4, s3, 13
	s_ashr_i32 s5, s4, 31
	s_mul_hi_u32 s6, s4, s2
	s_mul_i32 s5, s5, s2
	s_add_i32 s10, s6, s5
	s_mul_i32 s11, s4, s2
	s_sub_u32 s12, s8, s11
	s_subb_u32 s13, s9, s10
	v_cmp_lt_i64_e64 s[4:5], s[12:13], 1
	s_and_b64 vcc, exec, s[4:5]
	s_cbranch_vccnz .LBB0_54
; %bb.1:
	s_load_dwordx4 s[4:7], s[0:1], 0x0
	s_cmp_gt_i32 s3, 0
	s_mov_b32 s0, 0
	s_cbranch_scc1 .LBB0_3
; %bb.2:
	s_mov_b64 s[14:15], 0
	v_mov_b32_e32 v16, s0
	s_cbranch_execz .LBB0_4
	s_branch .LBB0_52
.LBB0_3:
	s_mov_b64 s[14:15], -1
                                        ; implicit-def: $sgpr0
	v_mov_b32_e32 v16, s0
.LBB0_4:
	s_waitcnt lgkmcnt(0)
	s_add_u32 s4, s4, s11
	s_mul_i32 s9, s2, s3
	v_mbcnt_lo_u32_b32 v2, -1, 0
	s_addc_u32 s5, s5, s10
	v_mov_b32_e32 v3, 0
	s_lshl_b32 s9, s9, 13
	v_mbcnt_hi_u32_b32 v29, -1, v2
	v_bfrev_b32_e32 v2, 0.5
	v_mov_b32_e32 v1, v3
	v_add_u32_e32 v12, 0x200, v0
	v_or_b32_e32 v13, 0x400, v0
	v_add_u32_e32 v14, 0x600, v0
	v_or_b32_e32 v15, 0x800, v0
	;; [unrolled: 2-line block ×7, first 2 shown]
	v_add_u32_e32 v27, 0x1e00, v0
	v_lshrrev_b32_e32 v28, 6, v0
	v_cmp_gt_u32_e64 s[0:1], 64, v0
	s_sub_i32 s20, s8, s9
	s_mov_b32 s8, 0
	s_mov_b64 s[14:15], -1
	v_mov_b64_e32 v[8:9], 0x2000
	s_mov_b32 s16, 0x7060004
	s_mov_b32 s17, 0x7000504
	;; [unrolled: 1-line block ×4, first 2 shown]
	v_lshl_or_b32 v30, v29, 2, v2
	v_mov_b32_e32 v16, 0
	s_mov_b32 s21, 0
	s_branch .LBB0_6
.LBB0_5:                                ;   in Loop: Header=BB0_6 Depth=1
	s_add_u32 s4, s4, 0x2000
	s_addc_u32 s5, s5, 0
	s_add_u32 s12, s12, 0xffffe000
	s_addc_u32 s13, s13, -1
	s_add_i32 s21, s21, 1
	s_cmp_lt_i32 s21, s3
	s_cselect_b64 s[14:15], -1, 0
	s_addk_i32 s20, 0xe000
	s_cmp_eq_u32 s3, s21
	s_cselect_b64 s[10:11], -1, 0
	s_barrier
	s_andn2_b64 vcc, exec, s[10:11]
	s_cbranch_vccz .LBB0_52
.LBB0_6:                                ; =>This Inner Loop Header: Depth=1
	v_cmp_lt_i64_e32 vcc, s[12:13], v[8:9]
	v_lshl_add_u64 v[10:11], s[4:5], 0, v[0:1]
	s_mov_b64 s[10:11], -1
                                        ; implicit-def: $vgpr2
	s_cbranch_vccz .LBB0_29
; %bb.7:                                ;   in Loop: Header=BB0_6 Depth=1
	s_mov_b32 s9, s8
	s_mov_b32 s10, s8
	;; [unrolled: 1-line block ×3, first 2 shown]
	v_mov_b64_e32 v[4:5], s[8:9]
	v_cmp_gt_u32_e32 vcc, s20, v0
	v_mov_b64_e32 v[6:7], s[10:11]
	s_and_saveexec_b64 s[10:11], vcc
	s_cbranch_execnz .LBB0_37
; %bb.8:                                ;   in Loop: Header=BB0_6 Depth=1
	s_or_b64 exec, exec, s[10:11]
	v_cmp_gt_u32_e32 vcc, s20, v12
	s_and_saveexec_b64 s[10:11], vcc
	s_cbranch_execnz .LBB0_38
.LBB0_9:                                ;   in Loop: Header=BB0_6 Depth=1
	s_or_b64 exec, exec, s[10:11]
	v_cmp_gt_u32_e32 vcc, s20, v13
	s_and_saveexec_b64 s[10:11], vcc
	s_cbranch_execnz .LBB0_39
.LBB0_10:                               ;   in Loop: Header=BB0_6 Depth=1
	s_or_b64 exec, exec, s[10:11]
	v_cmp_gt_u32_e32 vcc, s20, v14
	s_and_saveexec_b64 s[10:11], vcc
	s_cbranch_execnz .LBB0_40
.LBB0_11:                               ;   in Loop: Header=BB0_6 Depth=1
	s_or_b64 exec, exec, s[10:11]
	v_cmp_gt_u32_e32 vcc, s20, v15
	s_and_saveexec_b64 s[10:11], vcc
	s_cbranch_execnz .LBB0_41
.LBB0_12:                               ;   in Loop: Header=BB0_6 Depth=1
	s_or_b64 exec, exec, s[10:11]
	v_cmp_gt_u32_e32 vcc, s20, v17
	s_and_saveexec_b64 s[10:11], vcc
	s_cbranch_execnz .LBB0_42
.LBB0_13:                               ;   in Loop: Header=BB0_6 Depth=1
	s_or_b64 exec, exec, s[10:11]
	v_cmp_gt_u32_e32 vcc, s20, v18
	s_and_saveexec_b64 s[10:11], vcc
	s_cbranch_execnz .LBB0_43
.LBB0_14:                               ;   in Loop: Header=BB0_6 Depth=1
	s_or_b64 exec, exec, s[10:11]
	v_cmp_gt_u32_e32 vcc, s20, v19
	s_and_saveexec_b64 s[10:11], vcc
	s_cbranch_execnz .LBB0_44
.LBB0_15:                               ;   in Loop: Header=BB0_6 Depth=1
	s_or_b64 exec, exec, s[10:11]
	v_cmp_gt_u32_e32 vcc, s20, v20
	s_and_saveexec_b64 s[10:11], vcc
	s_cbranch_execnz .LBB0_45
.LBB0_16:                               ;   in Loop: Header=BB0_6 Depth=1
	s_or_b64 exec, exec, s[10:11]
	v_cmp_gt_u32_e32 vcc, s20, v21
	s_and_saveexec_b64 s[10:11], vcc
	s_cbranch_execnz .LBB0_46
.LBB0_17:                               ;   in Loop: Header=BB0_6 Depth=1
	s_or_b64 exec, exec, s[10:11]
	v_cmp_gt_u32_e32 vcc, s20, v22
	s_and_saveexec_b64 s[10:11], vcc
	s_cbranch_execnz .LBB0_47
.LBB0_18:                               ;   in Loop: Header=BB0_6 Depth=1
	s_or_b64 exec, exec, s[10:11]
	v_cmp_gt_u32_e32 vcc, s20, v23
	s_and_saveexec_b64 s[10:11], vcc
	s_cbranch_execnz .LBB0_48
.LBB0_19:                               ;   in Loop: Header=BB0_6 Depth=1
	s_or_b64 exec, exec, s[10:11]
	v_cmp_gt_u32_e32 vcc, s20, v24
	s_and_saveexec_b64 s[10:11], vcc
	s_cbranch_execnz .LBB0_49
.LBB0_20:                               ;   in Loop: Header=BB0_6 Depth=1
	s_or_b64 exec, exec, s[10:11]
	v_cmp_gt_u32_e32 vcc, s20, v25
	s_and_saveexec_b64 s[10:11], vcc
	s_cbranch_execnz .LBB0_50
.LBB0_21:                               ;   in Loop: Header=BB0_6 Depth=1
	s_or_b64 exec, exec, s[10:11]
	v_cmp_gt_u32_e32 vcc, s20, v26
	s_and_saveexec_b64 s[10:11], vcc
	s_cbranch_execnz .LBB0_51
.LBB0_22:                               ;   in Loop: Header=BB0_6 Depth=1
	s_or_b64 exec, exec, s[10:11]
	v_cmp_gt_u32_e32 vcc, s20, v27
	s_and_saveexec_b64 s[10:11], vcc
	s_cbranch_execz .LBB0_24
.LBB0_23:                               ;   in Loop: Header=BB0_6 Depth=1
	v_add_co_u32_e32 v32, vcc, 0x1000, v10
	s_nop 1
	v_addc_co_u32_e32 v33, vcc, 0, v11, vcc
	global_load_ubyte v2, v[32:33], off offset:3584
	s_waitcnt vmcnt(0)
	v_perm_b32 v7, v7, v2, s18
.LBB0_24:                               ;   in Loop: Header=BB0_6 Depth=1
	s_or_b64 exec, exec, s[10:11]
	v_lshrrev_b32_e32 v2, 8, v4
	v_add_u16_e32 v2, v2, v4
	v_add_u16_sdwa v2, v2, v4 dst_sel:DWORD dst_unused:UNUSED_PAD src0_sel:DWORD src1_sel:WORD_1
	v_lshrrev_b64 v[32:33], 24, v[4:5]
	v_add_u16_e32 v2, v2, v32
	v_add_u16_e32 v2, v2, v5
	v_lshrrev_b32_e32 v4, 8, v5
	v_add_u16_e32 v2, v2, v4
	v_add_u16_sdwa v2, v2, v5 dst_sel:DWORD dst_unused:UNUSED_PAD src0_sel:DWORD src1_sel:WORD_1
	v_add_u16_sdwa v2, v2, v5 dst_sel:DWORD dst_unused:UNUSED_PAD src0_sel:DWORD src1_sel:BYTE_3
	v_add_u16_e32 v2, v2, v6
	v_lshrrev_b32_e32 v4, 8, v6
	v_add_u16_e32 v2, v2, v4
	v_add_u16_sdwa v2, v2, v6 dst_sel:DWORD dst_unused:UNUSED_PAD src0_sel:DWORD src1_sel:WORD_1
	v_lshrrev_b64 v[4:5], 24, v[6:7]
	v_add_u16_e32 v2, v2, v4
	v_add_u16_e32 v2, v2, v7
	v_lshrrev_b32_e32 v4, 8, v7
	v_add_u16_e32 v2, v2, v4
	v_add_u16_sdwa v2, v2, v7 dst_sel:DWORD dst_unused:UNUSED_PAD src0_sel:DWORD src1_sel:WORD_1
	v_add_u16_sdwa v2, v2, v7 dst_sel:DWORD dst_unused:UNUSED_PAD src0_sel:DWORD src1_sel:BYTE_3
	v_and_b32_e32 v4, 0xff, v2
	v_cmp_eq_u32_e32 vcc, 0, v29
	s_nop 0
	v_mov_b32_dpp v4, v4 quad_perm:[1,0,3,2] row_mask:0xf bank_mask:0xf
	v_add_u16_e32 v2, v2, v4
	v_and_b32_e32 v4, 0xff, v2
	s_barrier
	s_nop 0
	v_mov_b32_dpp v4, v4 quad_perm:[2,3,0,1] row_mask:0xf bank_mask:0xf
	v_add_u16_e32 v2, v2, v4
	v_and_b32_e32 v4, 0xff, v2
	s_nop 1
	v_mov_b32_dpp v4, v4 row_ror:4 row_mask:0xf bank_mask:0xf
	v_add_u16_e32 v2, v2, v4
	v_and_b32_e32 v4, 0xff, v2
	s_nop 1
	v_mov_b32_dpp v4, v4 row_ror:8 row_mask:0xf bank_mask:0xf
	v_add_u16_e32 v2, v2, v4
	v_and_b32_e32 v4, 0xff, v2
	s_nop 1
	v_mov_b32_dpp v4, v4 row_bcast:15 row_mask:0xf bank_mask:0xf
	v_add_u16_e32 v2, v2, v4
	v_and_b32_e32 v4, 0xff, v2
	s_nop 1
	v_mov_b32_dpp v4, v4 row_bcast:31 row_mask:0xf bank_mask:0xf
	v_add_u16_e32 v2, v2, v4
	v_and_b32_e32 v2, 0xff, v2
	ds_bpermute_b32 v2, v30, v2
	s_and_saveexec_b64 s[10:11], vcc
	s_cbranch_execz .LBB0_26
; %bb.25:                               ;   in Loop: Header=BB0_6 Depth=1
	s_waitcnt lgkmcnt(0)
	ds_write_b8 v28, v2
.LBB0_26:                               ;   in Loop: Header=BB0_6 Depth=1
	s_or_b64 exec, exec, s[10:11]
	s_waitcnt lgkmcnt(0)
	s_barrier
	s_and_saveexec_b64 s[10:11], s[0:1]
	s_cbranch_execz .LBB0_28
; %bb.27:                               ;   in Loop: Header=BB0_6 Depth=1
	v_and_b32_e32 v2, 7, v29
	ds_read_u8 v4, v2
	v_cmp_ne_u32_e32 vcc, 7, v2
	s_waitcnt lgkmcnt(0)
	v_and_b32_e32 v6, 0xff, v4
	v_addc_co_u32_e32 v5, vcc, 0, v29, vcc
	v_lshlrev_b32_e32 v5, 2, v5
	ds_bpermute_b32 v5, v5, v6
	v_cmp_gt_u32_e32 vcc, 6, v2
	s_waitcnt lgkmcnt(0)
	v_add_u16_e32 v4, v4, v5
	v_cndmask_b32_e64 v6, 0, 1, vcc
	v_lshlrev_b32_e32 v6, 1, v6
	v_add_lshl_u32 v6, v6, v29, 2
	v_and_b32_e32 v5, 0xff, v4
	ds_bpermute_b32 v5, v6, v5
	v_cmp_gt_u32_e32 vcc, 4, v2
	s_waitcnt lgkmcnt(0)
	v_add_u16_e32 v4, v4, v5
	v_cndmask_b32_e64 v2, 0, 1, vcc
	v_lshlrev_b32_e32 v2, 2, v2
	v_and_b32_e32 v5, 0xff, v4
	v_add_lshl_u32 v2, v2, v29, 2
	ds_bpermute_b32 v2, v2, v5
	s_waitcnt lgkmcnt(0)
	v_add_u16_e32 v2, v4, v2
.LBB0_28:                               ;   in Loop: Header=BB0_6 Depth=1
	s_or_b64 exec, exec, s[10:11]
	s_mov_b64 s[10:11], 0
.LBB0_29:                               ;   in Loop: Header=BB0_6 Depth=1
	s_and_b64 vcc, exec, s[10:11]
	s_cbranch_vccz .LBB0_35
; %bb.30:                               ;   in Loop: Header=BB0_6 Depth=1
	global_load_ubyte v2, v[10:11], off
	global_load_ubyte v6, v[10:11], off offset:512
	global_load_ubyte v7, v[10:11], off offset:1024
	;; [unrolled: 1-line block ×7, first 2 shown]
	v_add_co_u32_e32 v4, vcc, 0x1000, v10
	s_waitcnt vmcnt(6)
	v_add_u16_e32 v2, v6, v2
	v_addc_co_u32_e32 v5, vcc, 0, v11, vcc
	global_load_ubyte v10, v[4:5], off
	global_load_ubyte v11, v[4:5], off offset:512
	global_load_ubyte v36, v[4:5], off offset:1024
	;; [unrolled: 1-line block ×7, first 2 shown]
	s_waitcnt vmcnt(13)
	v_add_u16_e32 v2, v2, v7
	s_waitcnt vmcnt(12)
	v_add_u16_e32 v2, v2, v31
	;; [unrolled: 2-line block ×6, first 2 shown]
	v_cmp_eq_u32_e32 vcc, 0, v29
	s_barrier
	s_waitcnt vmcnt(7)
	v_add_u16_e32 v2, v2, v10
	s_waitcnt vmcnt(6)
	v_add_u16_e32 v2, v2, v11
	s_waitcnt vmcnt(5)
	v_add_u16_e32 v2, v2, v36
	s_waitcnt vmcnt(4)
	v_add_u16_e32 v2, v2, v37
	s_waitcnt vmcnt(3)
	v_add_u16_e32 v2, v2, v38
	s_waitcnt vmcnt(2)
	v_add_u16_e32 v2, v2, v39
	s_waitcnt vmcnt(1)
	v_add_u16_e32 v2, v2, v40
	s_waitcnt vmcnt(0)
	v_add_u16_e32 v2, v2, v41
	v_and_b32_e32 v4, 0xff, v2
	s_nop 1
	v_mov_b32_dpp v4, v4 quad_perm:[1,0,3,2] row_mask:0xf bank_mask:0xf
	v_add_u16_e32 v2, v2, v4
	v_and_b32_e32 v4, 0xff, v2
	s_nop 1
	v_mov_b32_dpp v4, v4 quad_perm:[2,3,0,1] row_mask:0xf bank_mask:0xf
	v_add_u16_e32 v2, v2, v4
	v_and_b32_e32 v4, 0xff, v2
	s_nop 1
	v_mov_b32_dpp v4, v4 row_ror:4 row_mask:0xf bank_mask:0xf
	v_add_u16_e32 v2, v2, v4
	v_and_b32_e32 v4, 0xff, v2
	s_nop 1
	v_mov_b32_dpp v4, v4 row_ror:8 row_mask:0xf bank_mask:0xf
	v_add_u16_e32 v2, v2, v4
	v_and_b32_e32 v4, 0xff, v2
	s_nop 1
	v_mov_b32_dpp v4, v4 row_bcast:15 row_mask:0xf bank_mask:0xf
	v_add_u16_e32 v2, v2, v4
	v_and_b32_e32 v4, 0xff, v2
	s_nop 1
	v_mov_b32_dpp v4, v4 row_bcast:31 row_mask:0xf bank_mask:0xf
	v_add_u16_e32 v2, v2, v4
	v_and_b32_e32 v2, 0xff, v2
	ds_bpermute_b32 v2, v30, v2
	s_and_saveexec_b64 s[10:11], vcc
	s_cbranch_execz .LBB0_32
; %bb.31:                               ;   in Loop: Header=BB0_6 Depth=1
	s_waitcnt lgkmcnt(0)
	ds_write_b8 v28, v2
.LBB0_32:                               ;   in Loop: Header=BB0_6 Depth=1
	s_or_b64 exec, exec, s[10:11]
	s_waitcnt lgkmcnt(0)
	s_barrier
	s_and_saveexec_b64 s[10:11], s[0:1]
	s_cbranch_execz .LBB0_34
; %bb.33:                               ;   in Loop: Header=BB0_6 Depth=1
	v_and_b32_e32 v2, 7, v29
	ds_read_u8 v4, v2
	v_cmp_ne_u32_e32 vcc, 7, v2
	s_waitcnt lgkmcnt(0)
	v_and_b32_e32 v6, 0xff, v4
	v_addc_co_u32_e32 v5, vcc, 0, v29, vcc
	v_lshlrev_b32_e32 v5, 2, v5
	ds_bpermute_b32 v5, v5, v6
	v_cmp_gt_u32_e32 vcc, 6, v2
	s_waitcnt lgkmcnt(0)
	v_add_u16_e32 v4, v4, v5
	v_cndmask_b32_e64 v6, 0, 1, vcc
	v_lshlrev_b32_e32 v6, 1, v6
	v_add_lshl_u32 v6, v6, v29, 2
	v_and_b32_e32 v5, 0xff, v4
	ds_bpermute_b32 v5, v6, v5
	v_cmp_gt_u32_e32 vcc, 4, v2
	s_waitcnt lgkmcnt(0)
	v_add_u16_e32 v4, v4, v5
	v_cndmask_b32_e64 v2, 0, 1, vcc
	v_lshlrev_b32_e32 v2, 2, v2
	v_and_b32_e32 v5, 0xff, v4
	v_add_lshl_u32 v2, v2, v29, 2
	ds_bpermute_b32 v2, v2, v5
	s_waitcnt lgkmcnt(0)
	v_add_u16_e32 v2, v4, v2
.LBB0_34:                               ;   in Loop: Header=BB0_6 Depth=1
	s_or_b64 exec, exec, s[10:11]
.LBB0_35:                               ;   in Loop: Header=BB0_6 Depth=1
	v_mov_b64_e32 v[4:5], 0x2001
	v_cmp_lt_i64_e32 vcc, s[12:13], v[4:5]
	v_add_u16_e32 v16, v2, v16
	s_cbranch_vccz .LBB0_5
; %bb.36:
                                        ; implicit-def: $sgpr4_sgpr5
                                        ; implicit-def: $sgpr21
                                        ; implicit-def: $sgpr12_sgpr13
                                        ; implicit-def: $sgpr20
	s_branch .LBB0_52
.LBB0_37:                               ;   in Loop: Header=BB0_6 Depth=1
	global_load_ubyte v2, v[10:11], off
	v_mov_b32_e32 v4, v3
	v_mov_b32_e32 v5, v3
	s_waitcnt vmcnt(0)
	v_and_b32_e32 v2, 0xffff, v2
	v_mov_b64_e32 v[6:7], v[4:5]
	v_mov_b64_e32 v[4:5], v[2:3]
	s_or_b64 exec, exec, s[10:11]
	v_cmp_gt_u32_e32 vcc, s20, v12
	s_and_saveexec_b64 s[10:11], vcc
	s_cbranch_execz .LBB0_9
.LBB0_38:                               ;   in Loop: Header=BB0_6 Depth=1
	global_load_ubyte v2, v[10:11], off offset:512
	s_waitcnt vmcnt(0)
	v_perm_b32 v4, v4, v2, s16
	s_or_b64 exec, exec, s[10:11]
	v_cmp_gt_u32_e32 vcc, s20, v13
	s_and_saveexec_b64 s[10:11], vcc
	s_cbranch_execz .LBB0_10
.LBB0_39:                               ;   in Loop: Header=BB0_6 Depth=1
	global_load_ubyte v2, v[10:11], off offset:1024
	s_waitcnt vmcnt(0)
	v_perm_b32 v4, v4, v2, s17
	s_or_b64 exec, exec, s[10:11]
	v_cmp_gt_u32_e32 vcc, s20, v14
	s_and_saveexec_b64 s[10:11], vcc
	s_cbranch_execz .LBB0_11
.LBB0_40:                               ;   in Loop: Header=BB0_6 Depth=1
	global_load_ubyte v2, v[10:11], off offset:1536
	s_waitcnt vmcnt(0)
	v_perm_b32 v4, v4, v2, s18
	s_or_b64 exec, exec, s[10:11]
	v_cmp_gt_u32_e32 vcc, s20, v15
	s_and_saveexec_b64 s[10:11], vcc
	s_cbranch_execz .LBB0_12
.LBB0_41:                               ;   in Loop: Header=BB0_6 Depth=1
	global_load_ubyte v2, v[10:11], off offset:2048
	s_waitcnt vmcnt(0)
	v_perm_b32 v5, v2, v5, s19
	s_or_b64 exec, exec, s[10:11]
	v_cmp_gt_u32_e32 vcc, s20, v17
	s_and_saveexec_b64 s[10:11], vcc
	s_cbranch_execz .LBB0_13
.LBB0_42:                               ;   in Loop: Header=BB0_6 Depth=1
	global_load_ubyte v2, v[10:11], off offset:2560
	s_waitcnt vmcnt(0)
	v_perm_b32 v5, v5, v2, s16
	s_or_b64 exec, exec, s[10:11]
	v_cmp_gt_u32_e32 vcc, s20, v18
	s_and_saveexec_b64 s[10:11], vcc
	s_cbranch_execz .LBB0_14
.LBB0_43:                               ;   in Loop: Header=BB0_6 Depth=1
	global_load_ubyte v2, v[10:11], off offset:3072
	s_waitcnt vmcnt(0)
	v_perm_b32 v5, v5, v2, s17
	s_or_b64 exec, exec, s[10:11]
	v_cmp_gt_u32_e32 vcc, s20, v19
	s_and_saveexec_b64 s[10:11], vcc
	s_cbranch_execz .LBB0_15
.LBB0_44:                               ;   in Loop: Header=BB0_6 Depth=1
	global_load_ubyte v2, v[10:11], off offset:3584
	s_waitcnt vmcnt(0)
	v_perm_b32 v5, v5, v2, s18
	s_or_b64 exec, exec, s[10:11]
	v_cmp_gt_u32_e32 vcc, s20, v20
	s_and_saveexec_b64 s[10:11], vcc
	s_cbranch_execz .LBB0_16
.LBB0_45:                               ;   in Loop: Header=BB0_6 Depth=1
	v_add_co_u32_e32 v32, vcc, 0x1000, v10
	s_nop 1
	v_addc_co_u32_e32 v33, vcc, 0, v11, vcc
	global_load_ubyte v2, v[32:33], off
	s_waitcnt vmcnt(0)
	v_perm_b32 v6, v2, v6, s19
	s_or_b64 exec, exec, s[10:11]
	v_cmp_gt_u32_e32 vcc, s20, v21
	s_and_saveexec_b64 s[10:11], vcc
	s_cbranch_execz .LBB0_17
.LBB0_46:                               ;   in Loop: Header=BB0_6 Depth=1
	v_add_co_u32_e32 v32, vcc, 0x1000, v10
	s_nop 1
	v_addc_co_u32_e32 v33, vcc, 0, v11, vcc
	global_load_ubyte v2, v[32:33], off offset:512
	s_waitcnt vmcnt(0)
	v_perm_b32 v6, v6, v2, s16
	s_or_b64 exec, exec, s[10:11]
	v_cmp_gt_u32_e32 vcc, s20, v22
	s_and_saveexec_b64 s[10:11], vcc
	s_cbranch_execz .LBB0_18
.LBB0_47:                               ;   in Loop: Header=BB0_6 Depth=1
	v_add_co_u32_e32 v32, vcc, 0x1000, v10
	s_nop 1
	v_addc_co_u32_e32 v33, vcc, 0, v11, vcc
	global_load_ubyte v2, v[32:33], off offset:1024
	s_waitcnt vmcnt(0)
	v_perm_b32 v6, v6, v2, s17
	s_or_b64 exec, exec, s[10:11]
	v_cmp_gt_u32_e32 vcc, s20, v23
	s_and_saveexec_b64 s[10:11], vcc
	s_cbranch_execz .LBB0_19
.LBB0_48:                               ;   in Loop: Header=BB0_6 Depth=1
	v_add_co_u32_e32 v32, vcc, 0x1000, v10
	s_nop 1
	v_addc_co_u32_e32 v33, vcc, 0, v11, vcc
	global_load_ubyte v2, v[32:33], off offset:1536
	s_waitcnt vmcnt(0)
	v_perm_b32 v6, v6, v2, s18
	s_or_b64 exec, exec, s[10:11]
	v_cmp_gt_u32_e32 vcc, s20, v24
	s_and_saveexec_b64 s[10:11], vcc
	s_cbranch_execz .LBB0_20
.LBB0_49:                               ;   in Loop: Header=BB0_6 Depth=1
	v_add_co_u32_e32 v32, vcc, 0x1000, v10
	s_nop 1
	v_addc_co_u32_e32 v33, vcc, 0, v11, vcc
	global_load_ubyte v2, v[32:33], off offset:2048
	s_waitcnt vmcnt(0)
	v_perm_b32 v7, v2, v7, s19
	s_or_b64 exec, exec, s[10:11]
	v_cmp_gt_u32_e32 vcc, s20, v25
	s_and_saveexec_b64 s[10:11], vcc
	s_cbranch_execz .LBB0_21
.LBB0_50:                               ;   in Loop: Header=BB0_6 Depth=1
	v_add_co_u32_e32 v32, vcc, 0x1000, v10
	s_nop 1
	v_addc_co_u32_e32 v33, vcc, 0, v11, vcc
	global_load_ubyte v2, v[32:33], off offset:2560
	s_waitcnt vmcnt(0)
	v_perm_b32 v7, v7, v2, s16
	s_or_b64 exec, exec, s[10:11]
	v_cmp_gt_u32_e32 vcc, s20, v26
	s_and_saveexec_b64 s[10:11], vcc
	s_cbranch_execz .LBB0_22
.LBB0_51:                               ;   in Loop: Header=BB0_6 Depth=1
	v_add_co_u32_e32 v32, vcc, 0x1000, v10
	s_nop 1
	v_addc_co_u32_e32 v33, vcc, 0, v11, vcc
	global_load_ubyte v2, v[32:33], off offset:3072
	s_waitcnt vmcnt(0)
	v_perm_b32 v7, v7, v2, s17
	s_or_b64 exec, exec, s[10:11]
	v_cmp_gt_u32_e32 vcc, s20, v27
	s_and_saveexec_b64 s[10:11], vcc
	s_cbranch_execnz .LBB0_23
	s_branch .LBB0_24
.LBB0_52:
	v_cmp_eq_u32_e32 vcc, 0, v0
	s_xor_b64 s[0:1], s[14:15], -1
	s_and_b64 s[0:1], vcc, s[0:1]
	s_waitcnt lgkmcnt(0)
	s_and_saveexec_b64 s[4:5], s[0:1]
	s_cbranch_execz .LBB0_54
; %bb.53:
	s_add_u32 s0, s6, s2
	s_addc_u32 s1, s7, 0
	v_mov_b32_e32 v0, 0
	global_store_byte v0, v16, s[0:1]
.LBB0_54:
	s_endpgm
	.section	.rodata,"a",@progbits
	.p2align	6, 0x0
	.amdhsa_kernel _ZN2at4cuda3cub15calc_block_sumsILi512ELi16ELb0EhhEEvPKT2_PT3_li
		.amdhsa_group_segment_fixed_size 8
		.amdhsa_private_segment_fixed_size 0
		.amdhsa_kernarg_size 28
		.amdhsa_user_sgpr_count 2
		.amdhsa_user_sgpr_dispatch_ptr 0
		.amdhsa_user_sgpr_queue_ptr 0
		.amdhsa_user_sgpr_kernarg_segment_ptr 1
		.amdhsa_user_sgpr_dispatch_id 0
		.amdhsa_user_sgpr_kernarg_preload_length 0
		.amdhsa_user_sgpr_kernarg_preload_offset 0
		.amdhsa_user_sgpr_private_segment_size 0
		.amdhsa_uses_dynamic_stack 0
		.amdhsa_enable_private_segment 0
		.amdhsa_system_sgpr_workgroup_id_x 1
		.amdhsa_system_sgpr_workgroup_id_y 0
		.amdhsa_system_sgpr_workgroup_id_z 0
		.amdhsa_system_sgpr_workgroup_info 0
		.amdhsa_system_vgpr_workitem_id 0
		.amdhsa_next_free_vgpr 42
		.amdhsa_next_free_sgpr 22
		.amdhsa_accum_offset 44
		.amdhsa_reserve_vcc 1
		.amdhsa_float_round_mode_32 0
		.amdhsa_float_round_mode_16_64 0
		.amdhsa_float_denorm_mode_32 3
		.amdhsa_float_denorm_mode_16_64 3
		.amdhsa_dx10_clamp 1
		.amdhsa_ieee_mode 1
		.amdhsa_fp16_overflow 0
		.amdhsa_tg_split 0
		.amdhsa_exception_fp_ieee_invalid_op 0
		.amdhsa_exception_fp_denorm_src 0
		.amdhsa_exception_fp_ieee_div_zero 0
		.amdhsa_exception_fp_ieee_overflow 0
		.amdhsa_exception_fp_ieee_underflow 0
		.amdhsa_exception_fp_ieee_inexact 0
		.amdhsa_exception_int_div_zero 0
	.end_amdhsa_kernel
	.section	.text._ZN2at4cuda3cub15calc_block_sumsILi512ELi16ELb0EhhEEvPKT2_PT3_li,"axG",@progbits,_ZN2at4cuda3cub15calc_block_sumsILi512ELi16ELb0EhhEEvPKT2_PT3_li,comdat
.Lfunc_end0:
	.size	_ZN2at4cuda3cub15calc_block_sumsILi512ELi16ELb0EhhEEvPKT2_PT3_li, .Lfunc_end0-_ZN2at4cuda3cub15calc_block_sumsILi512ELi16ELb0EhhEEvPKT2_PT3_li
                                        ; -- End function
	.section	.AMDGPU.csdata,"",@progbits
; Kernel info:
; codeLenInByte = 2608
; NumSgprs: 28
; NumVgprs: 42
; NumAgprs: 0
; TotalNumVgprs: 42
; ScratchSize: 0
; MemoryBound: 0
; FloatMode: 240
; IeeeMode: 1
; LDSByteSize: 8 bytes/workgroup (compile time only)
; SGPRBlocks: 3
; VGPRBlocks: 5
; NumSGPRsForWavesPerEU: 28
; NumVGPRsForWavesPerEU: 42
; AccumOffset: 44
; Occupancy: 8
; WaveLimiterHint : 1
; COMPUTE_PGM_RSRC2:SCRATCH_EN: 0
; COMPUTE_PGM_RSRC2:USER_SGPR: 2
; COMPUTE_PGM_RSRC2:TRAP_HANDLER: 0
; COMPUTE_PGM_RSRC2:TGID_X_EN: 1
; COMPUTE_PGM_RSRC2:TGID_Y_EN: 0
; COMPUTE_PGM_RSRC2:TGID_Z_EN: 0
; COMPUTE_PGM_RSRC2:TIDIG_COMP_CNT: 0
; COMPUTE_PGM_RSRC3_GFX90A:ACCUM_OFFSET: 10
; COMPUTE_PGM_RSRC3_GFX90A:TG_SPLIT: 0
	.section	.text._ZN2at4cuda3cub17final_scan_kernelILi512ELi16EhEEvPKT1_PS3_S6_li,"axG",@progbits,_ZN2at4cuda3cub17final_scan_kernelILi512ELi16EhEEvPKT1_PS3_S6_li,comdat
	.protected	_ZN2at4cuda3cub17final_scan_kernelILi512ELi16EhEEvPKT1_PS3_S6_li ; -- Begin function _ZN2at4cuda3cub17final_scan_kernelILi512ELi16EhEEvPKT1_PS3_S6_li
	.globl	_ZN2at4cuda3cub17final_scan_kernelILi512ELi16EhEEvPKT1_PS3_S6_li
	.p2align	8
	.type	_ZN2at4cuda3cub17final_scan_kernelILi512ELi16EhEEvPKT1_PS3_S6_li,@function
_ZN2at4cuda3cub17final_scan_kernelILi512ELi16EhEEvPKT1_PS3_S6_li: ; @_ZN2at4cuda3cub17final_scan_kernelILi512ELi16EhEEvPKT1_PS3_S6_li
; %bb.0:
	s_load_dword s33, s[0:1], 0x20
	s_load_dwordx8 s[36:43], s[0:1], 0x0
	s_waitcnt lgkmcnt(0)
	s_lshl_b32 s3, s33, 13
	s_ashr_i32 s4, s3, 31
	s_mul_hi_u32 s5, s3, s2
	s_mul_i32 s4, s4, s2
	s_add_i32 s31, s5, s4
	s_mul_i32 s30, s3, s2
	s_sub_u32 s44, s42, s30
	s_subb_u32 s45, s43, s31
	v_cmp_lt_i64_e64 s[4:5], s[44:45], 1
	s_and_b64 vcc, exec, s[4:5]
	s_cbranch_vccnz .LBB1_98
; %bb.1:
	v_cmp_gt_u32_e32 vcc, s2, v0
	v_mov_b32_e32 v1, 0
	s_and_saveexec_b64 s[4:5], vcc
	s_cbranch_execz .LBB1_3
; %bb.2:
	global_load_ubyte v1, v0, s[40:41]
.LBB1_3:
	s_or_b64 exec, exec, s[4:5]
	s_load_dword s0, s[0:1], 0x34
	s_waitcnt lgkmcnt(0)
	s_and_b32 s3, s0, 0xffff
	v_add_u32_e32 v2, s3, v0
	v_cmp_gt_u32_e32 vcc, s2, v2
	s_and_saveexec_b64 s[0:1], vcc
	s_cbranch_execz .LBB1_7
; %bb.4:
	s_mov_b64 s[4:5], 0
.LBB1_5:                                ; =>This Inner Loop Header: Depth=1
	global_load_ubyte v3, v2, s[40:41]
	v_add_u32_e32 v2, s3, v2
	v_cmp_le_u32_e32 vcc, s2, v2
	s_or_b64 s[4:5], vcc, s[4:5]
	s_waitcnt vmcnt(0)
	v_add_u16_e32 v1, v3, v1
	s_andn2_b64 exec, exec, s[4:5]
	s_cbranch_execnz .LBB1_5
; %bb.6:
	s_or_b64 exec, exec, s[4:5]
.LBB1_7:
	s_or_b64 exec, exec, s[0:1]
	v_mbcnt_lo_u32_b32 v2, -1, 0
	v_mbcnt_hi_u32_b32 v8, -1, v2
	s_waitcnt vmcnt(0)
	v_and_b32_e32 v2, 0xff, v1
	v_cmp_eq_u32_e64 s[0:1], 0, v8
	s_nop 0
	v_mov_b32_dpp v2, v2 quad_perm:[1,0,3,2] row_mask:0xf bank_mask:0xf
	v_add_u16_e32 v1, v1, v2
	v_and_b32_e32 v2, 0xff, v1
	s_nop 1
	v_mov_b32_dpp v2, v2 quad_perm:[2,3,0,1] row_mask:0xf bank_mask:0xf
	v_add_u16_e32 v1, v1, v2
	v_and_b32_e32 v2, 0xff, v1
	s_nop 1
	v_mov_b32_dpp v2, v2 row_ror:4 row_mask:0xf bank_mask:0xf
	v_add_u16_e32 v1, v1, v2
	v_and_b32_e32 v2, 0xff, v1
	s_nop 1
	v_mov_b32_dpp v2, v2 row_ror:8 row_mask:0xf bank_mask:0xf
	v_add_u16_e32 v1, v1, v2
	v_and_b32_e32 v2, 0xff, v1
	s_nop 1
	v_mov_b32_dpp v2, v2 row_bcast:15 row_mask:0xf bank_mask:0xf
	v_add_u16_e32 v1, v1, v2
	v_and_b32_e32 v2, 0xff, v1
	s_nop 1
	v_mov_b32_dpp v2, v2 row_bcast:31 row_mask:0xf bank_mask:0xf
	v_add_u16_e32 v1, v1, v2
	v_bfrev_b32_e32 v2, 0.5
	v_and_b32_e32 v1, 0xff, v1
	v_lshl_or_b32 v2, v8, 2, v2
	ds_bpermute_b32 v20, v2, v1
	v_lshrrev_b32_e32 v1, 6, v0
	s_and_saveexec_b64 s[4:5], s[0:1]
	s_cbranch_execz .LBB1_9
; %bb.8:
	s_waitcnt lgkmcnt(0)
	ds_write_b8 v1, v20
.LBB1_9:
	s_or_b64 exec, exec, s[4:5]
	v_cmp_lt_u32_e64 s[34:35], 63, v0
	v_cmp_gt_u32_e64 s[4:5], 64, v0
	v_and_b32_e32 v4, 7, v8
	s_waitcnt lgkmcnt(0)
	s_barrier
	s_and_saveexec_b64 s[6:7], s[4:5]
	s_cbranch_execz .LBB1_11
; %bb.10:
	ds_read_u8 v2, v4
	v_cmp_ne_u32_e32 vcc, 7, v4
	s_waitcnt lgkmcnt(0)
	v_and_b32_e32 v5, 0xff, v2
	v_addc_co_u32_e32 v3, vcc, 0, v8, vcc
	v_lshlrev_b32_e32 v3, 2, v3
	ds_bpermute_b32 v3, v3, v5
	v_cmp_gt_u32_e32 vcc, 6, v4
	s_waitcnt lgkmcnt(0)
	v_add_u16_e32 v2, v2, v3
	v_cndmask_b32_e64 v5, 0, 1, vcc
	v_lshlrev_b32_e32 v5, 1, v5
	v_add_lshl_u32 v5, v5, v8, 2
	v_and_b32_e32 v3, 0xff, v2
	ds_bpermute_b32 v3, v5, v3
	v_cmp_gt_u32_e32 vcc, 4, v4
	s_waitcnt lgkmcnt(0)
	v_add_u16_e32 v2, v2, v3
	v_cndmask_b32_e64 v5, 0, 1, vcc
	v_lshlrev_b32_e32 v5, 2, v5
	v_and_b32_e32 v3, 0xff, v2
	v_add_lshl_u32 v5, v5, v8, 2
	ds_bpermute_b32 v3, v5, v3
	s_waitcnt lgkmcnt(0)
	v_add_u16_e32 v20, v2, v3
.LBB1_11:
	s_or_b64 exec, exec, s[6:7]
	s_cmp_lt_i32 s33, 1
	s_barrier
	s_cbranch_scc1 .LBB1_98
; %bb.12:
	v_lshlrev_b32_e32 v2, 4, v0
	v_and_b32_e32 v2, 0x3c00, v2
	v_or_b32_e32 v21, v8, v2
	v_add_u32_e32 v22, 64, v21
	v_lshrrev_b32_e32 v5, 5, v2
	v_add_u32_e32 v37, v5, v21
	v_lshrrev_b32_e32 v5, 5, v22
	v_or_b32_e32 v23, 0x80, v21
	v_and_b32_e32 v5, 0x1e4, v5
	v_add_u32_e32 v38, v5, v22
	v_lshrrev_b32_e32 v5, 5, v23
	v_add_u32_e32 v24, 0xc0, v21
	v_and_b32_e32 v5, 0x1e4, v5
	v_add_u32_e32 v39, v5, v23
	v_lshrrev_b32_e32 v5, 5, v24
	v_or_b32_e32 v25, 0x100, v21
	v_and_b32_e32 v5, 0x1ec, v5
	v_add_u32_e32 v40, v5, v24
	v_lshrrev_b32_e32 v5, 5, v25
	v_add_u32_e32 v26, 0x140, v21
	v_and_b32_e32 v5, 0x1e8, v5
	;; [unrolled: 8-line block ×7, first 2 shown]
	v_add_u32_e32 v51, v5, v35
	v_lshrrev_b32_e32 v5, 5, v36
	v_and_b32_e32 v5, 0x3fc, v5
	v_add_u32_e32 v52, v5, v36
	v_and_b32_e32 v5, 0x3c0, v0
	v_add_u32_e32 v6, v8, v5
	v_add_u16_e32 v7, v8, v5
	v_min_u32_e32 v5, 0x1c0, v5
	v_or_b32_e32 v5, 63, v5
	v_lshrrev_b16_e32 v7, 1, v7
	v_cmp_eq_u32_e64 s[18:19], v5, v0
	v_cmp_eq_u32_e64 s[22:23], 0, v4
	v_cmp_lt_u32_e64 s[24:25], 1, v4
	v_cmp_lt_u32_e64 s[26:27], 3, v4
	v_add_u32_e32 v4, -1, v8
	v_and_b32_e32 v5, 64, v8
	v_and_b32_e32 v7, 0x3fc, v7
	v_cmp_lt_i32_e32 vcc, v4, v5
	v_mov_b32_e32 v3, 0
	v_lshl_add_u32 v53, v6, 4, v7
	v_and_b32_e32 v6, 15, v8
	v_cndmask_b32_e32 v4, v4, v8, vcc
	v_cmp_eq_u32_e64 s[6:7], 0, v6
	v_cmp_lt_u32_e64 s[8:9], 1, v6
	v_cmp_lt_u32_e64 s[10:11], 3, v6
	;; [unrolled: 1-line block ×3, first 2 shown]
	v_and_b32_e32 v6, 16, v8
	v_lshlrev_b32_e32 v55, 2, v4
	v_lshl_add_u64 v[4:5], s[30:31], 0, v[2:3]
	s_mul_i32 s2, s2, s33
	v_cmp_eq_u32_e64 s[14:15], 0, v6
	v_lshl_add_u64 v[6:7], v[4:5], 0, s[38:39]
	s_mov_b64 s[30:31], 0x3c0
	s_lshl_b32 s2, s2, 13
	s_mov_b32 s40, 0
	v_mov_b32_e32 v9, v3
	v_cmp_lt_u32_e64 s[16:17], 31, v8
	v_cmp_gt_u32_e64 s[20:21], 8, v0
	v_add_u32_e32 v54, -1, v1
	v_cmp_eq_u32_e64 s[28:29], 0, v0
	v_lshl_add_u64 v[10:11], v[6:7], 0, s[30:31]
	v_lshl_add_u64 v[16:17], s[36:37], 0, v[4:5]
	s_sub_i32 s48, s42, s2
	s_mov_b64 s[2:3], 0x2000
	v_mov_b64_e32 v[12:13], 0x2000
	v_mov_b64_e32 v[14:15], 0x1fff
	s_mov_b32 s38, 0x7060004
	s_mov_b32 s39, 0x7000504
	;; [unrolled: 1-line block ×4, first 2 shown]
	s_branch .LBB1_14
.LBB1_13:                               ;   in Loop: Header=BB1_14 Depth=1
	s_add_u32 s44, s44, 0xffffe000
	s_addc_u32 s45, s45, -1
	s_add_i32 s33, s33, -1
	s_addk_i32 s48, 0xe000
	s_cmp_eq_u32 s33, 0
	v_lshl_add_u64 v[10:11], v[10:11], 0, s[2:3]
	v_lshl_add_u64 v[16:17], v[16:17], 0, s[2:3]
	s_cselect_b64 s[30:31], -1, 0
	s_waitcnt lgkmcnt(0)
	s_barrier
	s_andn2_b64 vcc, exec, s[30:31]
	s_cbranch_vccz .LBB1_98
.LBB1_14:                               ; =>This Inner Loop Header: Depth=1
	v_cmp_gt_i64_e32 vcc, s[44:45], v[14:15]
	s_mov_b64 s[36:37], -1
	v_cmp_gt_u32_e64 s[30:31], s48, v21
	s_cbranch_vccnz .LBB1_33
; %bb.15:                               ;   in Loop: Header=BB1_14 Depth=1
	s_mov_b32 s41, s40
	s_mov_b32 s42, s40
	s_mov_b32 s43, s40
	v_mov_b64_e32 v[4:5], s[40:41]
	v_lshl_add_u64 v[18:19], v[16:17], 0, v[8:9]
	v_mov_b64_e32 v[6:7], s[42:43]
	s_and_saveexec_b64 s[36:37], s[30:31]
	s_cbranch_execnz .LBB1_83
; %bb.16:                               ;   in Loop: Header=BB1_14 Depth=1
	s_or_b64 exec, exec, s[36:37]
	v_cmp_gt_u32_e32 vcc, s48, v22
	s_and_saveexec_b64 s[30:31], vcc
	s_cbranch_execnz .LBB1_84
.LBB1_17:                               ;   in Loop: Header=BB1_14 Depth=1
	s_or_b64 exec, exec, s[30:31]
	v_cmp_gt_u32_e32 vcc, s48, v23
	s_and_saveexec_b64 s[30:31], vcc
	s_cbranch_execnz .LBB1_85
.LBB1_18:                               ;   in Loop: Header=BB1_14 Depth=1
	s_or_b64 exec, exec, s[30:31]
	v_cmp_gt_u32_e32 vcc, s48, v24
	s_and_saveexec_b64 s[30:31], vcc
	s_cbranch_execnz .LBB1_86
.LBB1_19:                               ;   in Loop: Header=BB1_14 Depth=1
	s_or_b64 exec, exec, s[30:31]
	v_cmp_gt_u32_e32 vcc, s48, v25
	s_and_saveexec_b64 s[30:31], vcc
	s_cbranch_execnz .LBB1_87
.LBB1_20:                               ;   in Loop: Header=BB1_14 Depth=1
	s_or_b64 exec, exec, s[30:31]
	v_cmp_gt_u32_e32 vcc, s48, v26
	s_and_saveexec_b64 s[30:31], vcc
	s_cbranch_execnz .LBB1_88
.LBB1_21:                               ;   in Loop: Header=BB1_14 Depth=1
	s_or_b64 exec, exec, s[30:31]
	v_cmp_gt_u32_e32 vcc, s48, v27
	s_and_saveexec_b64 s[30:31], vcc
	s_cbranch_execnz .LBB1_89
.LBB1_22:                               ;   in Loop: Header=BB1_14 Depth=1
	s_or_b64 exec, exec, s[30:31]
	v_cmp_gt_u32_e32 vcc, s48, v28
	s_and_saveexec_b64 s[30:31], vcc
	s_cbranch_execnz .LBB1_90
.LBB1_23:                               ;   in Loop: Header=BB1_14 Depth=1
	s_or_b64 exec, exec, s[30:31]
	v_cmp_gt_u32_e32 vcc, s48, v29
	s_and_saveexec_b64 s[30:31], vcc
	s_cbranch_execnz .LBB1_91
.LBB1_24:                               ;   in Loop: Header=BB1_14 Depth=1
	s_or_b64 exec, exec, s[30:31]
	v_cmp_gt_u32_e32 vcc, s48, v30
	s_and_saveexec_b64 s[30:31], vcc
	s_cbranch_execnz .LBB1_92
.LBB1_25:                               ;   in Loop: Header=BB1_14 Depth=1
	s_or_b64 exec, exec, s[30:31]
	v_cmp_gt_u32_e32 vcc, s48, v31
	s_and_saveexec_b64 s[30:31], vcc
	s_cbranch_execnz .LBB1_93
.LBB1_26:                               ;   in Loop: Header=BB1_14 Depth=1
	s_or_b64 exec, exec, s[30:31]
	v_cmp_gt_u32_e32 vcc, s48, v32
	s_and_saveexec_b64 s[30:31], vcc
	s_cbranch_execnz .LBB1_94
.LBB1_27:                               ;   in Loop: Header=BB1_14 Depth=1
	s_or_b64 exec, exec, s[30:31]
	v_cmp_gt_u32_e32 vcc, s48, v33
	s_and_saveexec_b64 s[30:31], vcc
	s_cbranch_execnz .LBB1_95
.LBB1_28:                               ;   in Loop: Header=BB1_14 Depth=1
	s_or_b64 exec, exec, s[30:31]
	v_cmp_gt_u32_e32 vcc, s48, v34
	s_and_saveexec_b64 s[30:31], vcc
	s_cbranch_execnz .LBB1_96
.LBB1_29:                               ;   in Loop: Header=BB1_14 Depth=1
	s_or_b64 exec, exec, s[30:31]
	v_cmp_gt_u32_e32 vcc, s48, v35
	s_and_saveexec_b64 s[30:31], vcc
	s_cbranch_execnz .LBB1_97
.LBB1_30:                               ;   in Loop: Header=BB1_14 Depth=1
	s_or_b64 exec, exec, s[30:31]
	v_cmp_gt_u32_e32 vcc, s48, v36
	s_and_saveexec_b64 s[30:31], vcc
	s_cbranch_execz .LBB1_32
.LBB1_31:                               ;   in Loop: Header=BB1_14 Depth=1
	global_load_ubyte v2, v[18:19], off offset:960
	s_waitcnt vmcnt(0)
	v_perm_b32 v7, v7, v2, s46
.LBB1_32:                               ;   in Loop: Header=BB1_14 Depth=1
	s_or_b64 exec, exec, s[30:31]
	v_lshrrev_b32_e32 v2, 8, v4
	ds_write_b8 v37, v4
	ds_write_b8 v38, v2
	ds_write_b8_d16_hi v39, v4
	v_lshrrev_b32_e32 v2, 24, v4
	ds_write_b8 v40, v2
	ds_write_b8 v41, v5
	v_lshrrev_b32_e32 v2, 8, v5
	ds_write_b8 v42, v2
	ds_write_b8_d16_hi v43, v5
	v_lshrrev_b32_e32 v2, 24, v5
	ds_write_b8 v44, v2
	ds_write_b8 v45, v6
	v_lshrrev_b32_e32 v2, 8, v6
	;; [unrolled: 6-line block ×3, first 2 shown]
	ds_write_b8 v50, v2
	ds_write_b8_d16_hi v51, v7
	v_lshrrev_b32_e32 v2, 24, v7
	s_mov_b64 s[36:37], 0
	ds_write_b8 v52, v2
	; wave barrier
.LBB1_33:                               ;   in Loop: Header=BB1_14 Depth=1
	s_and_b64 vcc, exec, s[36:37]
	s_cbranch_vccz .LBB1_35
; %bb.34:                               ;   in Loop: Header=BB1_14 Depth=1
	v_lshl_add_u64 v[4:5], v[16:17], 0, v[8:9]
	global_load_ubyte v2, v[4:5], off
	global_load_ubyte v6, v[4:5], off offset:64
	global_load_ubyte v7, v[4:5], off offset:128
	;; [unrolled: 1-line block ×14, first 2 shown]
	s_nop 0
	global_load_ubyte v4, v[4:5], off offset:960
	s_waitcnt vmcnt(15)
	ds_write_b8 v37, v2
	s_waitcnt vmcnt(14)
	ds_write_b8 v38, v6
	;; [unrolled: 2-line block ×16, first 2 shown]
	; wave barrier
.LBB1_35:                               ;   in Loop: Header=BB1_14 Depth=1
	ds_read_b128 v[4:7], v53
	s_waitcnt lgkmcnt(0)
	s_barrier
	v_lshrrev_b32_e32 v18, 8, v4
	v_add_u16_e32 v2, v18, v4
	v_add_u16_sdwa v2, v2, v4 dst_sel:DWORD dst_unused:UNUSED_PAD src0_sel:DWORD src1_sel:WORD_1
	v_add_u16_sdwa v2, v2, v4 dst_sel:DWORD dst_unused:UNUSED_PAD src0_sel:DWORD src1_sel:BYTE_3
	v_lshrrev_b32_e32 v56, 8, v5
	v_add_u16_e32 v2, v2, v5
	v_add_u16_e32 v2, v2, v56
	v_add_u16_sdwa v2, v2, v5 dst_sel:DWORD dst_unused:UNUSED_PAD src0_sel:DWORD src1_sel:WORD_1
	v_add_u16_sdwa v2, v2, v5 dst_sel:DWORD dst_unused:UNUSED_PAD src0_sel:DWORD src1_sel:BYTE_3
	v_lshrrev_b32_e32 v58, 8, v6
	v_add_u16_e32 v2, v2, v6
	;; [unrolled: 5-line block ×3, first 2 shown]
	v_add_u16_e32 v2, v2, v59
	v_add_u16_sdwa v2, v2, v7 dst_sel:DWORD dst_unused:UNUSED_PAD src0_sel:DWORD src1_sel:WORD_1
	v_add_u16_sdwa v2, v2, v7 dst_sel:DWORD dst_unused:UNUSED_PAD src0_sel:DWORD src1_sel:BYTE_3
	v_and_b32_e32 v19, 0xff, v2
	s_nop 1
	v_mov_b32_dpp v19, v19 row_shr:1 row_mask:0xf bank_mask:0xf
	v_cndmask_b32_e64 v19, v19, 0, s[6:7]
	v_add_u16_e32 v2, v2, v19
	v_and_b32_e32 v19, 0xff, v2
	s_nop 1
	v_mov_b32_dpp v19, v19 row_shr:2 row_mask:0xf bank_mask:0xf
	v_cndmask_b32_e64 v19, 0, v19, s[8:9]
	v_add_u16_e32 v2, v2, v19
	;; [unrolled: 5-line block ×4, first 2 shown]
	v_and_b32_e32 v19, 0xff, v2
	s_nop 1
	v_mov_b32_dpp v19, v19 row_bcast:15 row_mask:0xf bank_mask:0xf
	v_cndmask_b32_e64 v19, v19, 0, s[14:15]
	v_add_u16_e32 v2, v2, v19
	v_and_b32_e32 v19, 0xff, v2
	s_nop 1
	v_mov_b32_dpp v19, v19 row_bcast:31 row_mask:0xf bank_mask:0xf
	v_cndmask_b32_e64 v19, 0, v19, s[16:17]
	v_add_u16_e32 v2, v2, v19
	s_and_saveexec_b64 s[30:31], s[18:19]
	s_cbranch_execz .LBB1_37
; %bb.36:                               ;   in Loop: Header=BB1_14 Depth=1
	ds_write_b8 v1, v2
.LBB1_37:                               ;   in Loop: Header=BB1_14 Depth=1
	s_or_b64 exec, exec, s[30:31]
	s_waitcnt lgkmcnt(0)
	s_barrier
	s_and_saveexec_b64 s[30:31], s[20:21]
	s_cbranch_execz .LBB1_39
; %bb.38:                               ;   in Loop: Header=BB1_14 Depth=1
	ds_read_u8 v19, v0
	s_waitcnt lgkmcnt(0)
	v_and_b32_e32 v57, 0xff, v19
	s_nop 1
	v_mov_b32_dpp v57, v57 row_shr:1 row_mask:0xf bank_mask:0xf
	v_cndmask_b32_e64 v57, v57, 0, s[22:23]
	v_add_u16_e32 v19, v57, v19
	v_and_b32_e32 v57, 0xff, v19
	s_nop 1
	v_mov_b32_dpp v57, v57 row_shr:2 row_mask:0xf bank_mask:0xf
	v_cndmask_b32_e64 v57, 0, v57, s[24:25]
	v_add_u16_e32 v19, v19, v57
	;; [unrolled: 5-line block ×3, first 2 shown]
	ds_write_b8 v0, v19
.LBB1_39:                               ;   in Loop: Header=BB1_14 Depth=1
	s_or_b64 exec, exec, s[30:31]
	s_waitcnt lgkmcnt(0)
	s_barrier
	s_waitcnt lgkmcnt(0)
                                        ; implicit-def: $vgpr19
	s_and_saveexec_b64 s[30:31], s[34:35]
	s_cbranch_execz .LBB1_41
; %bb.40:                               ;   in Loop: Header=BB1_14 Depth=1
	ds_read_u8 v19, v54
	s_waitcnt lgkmcnt(0)
	v_add_u16_e32 v2, v19, v2
.LBB1_41:                               ;   in Loop: Header=BB1_14 Depth=1
	s_or_b64 exec, exec, s[30:31]
	v_and_b32_e32 v2, 0xff, v2
	ds_bpermute_b32 v2, v55, v2
	s_and_saveexec_b64 s[30:31], s[4:5]
	s_cbranch_execz .LBB1_45
; %bb.42:                               ;   in Loop: Header=BB1_14 Depth=1
	ds_read_u8 v57, v3 offset:7
	s_and_saveexec_b64 s[36:37], s[28:29]
	s_cbranch_execz .LBB1_44
; %bb.43:                               ;   in Loop: Header=BB1_14 Depth=1
	ds_write_b8 v3, v20 offset:7
.LBB1_44:                               ;   in Loop: Header=BB1_14 Depth=1
	s_or_b64 exec, exec, s[36:37]
	s_waitcnt lgkmcnt(0)
	v_add_u16_e32 v20, v57, v20
.LBB1_45:                               ;   in Loop: Header=BB1_14 Depth=1
	s_or_b64 exec, exec, s[30:31]
	s_waitcnt lgkmcnt(0)
	s_barrier
	ds_read_u8 v57, v3 offset:7
	v_cndmask_b32_e64 v2, v2, v19, s[0:1]
	v_cndmask_b32_e64 v2, v2, 0, s[28:29]
	v_add_u16_e32 v2, v2, v4
	v_cmp_lt_i64_e32 vcc, s[44:45], v[12:13]
	s_waitcnt lgkmcnt(0)
	v_add_u16_e32 v2, v2, v57
	v_add_u16_e32 v60, v2, v18
	v_add_u16_sdwa v18, v60, v4 dst_sel:DWORD dst_unused:UNUSED_PAD src0_sel:DWORD src1_sel:WORD_1
	v_add_u16_sdwa v4, v18, v4 dst_sel:DWORD dst_unused:UNUSED_PAD src0_sel:DWORD src1_sel:BYTE_3
	v_add_u16_e32 v19, v4, v5
	v_add_u16_e32 v61, v19, v56
	v_add_u16_sdwa v56, v61, v5 dst_sel:DWORD dst_unused:UNUSED_PAD src0_sel:DWORD src1_sel:WORD_1
	v_add_u16_sdwa v5, v56, v5 dst_sel:DWORD dst_unused:UNUSED_PAD src0_sel:DWORD src1_sel:BYTE_3
	v_add_u16_e32 v57, v5, v6
	v_add_u16_e32 v62, v57, v58
	v_add_u16_sdwa v58, v62, v6 dst_sel:DWORD dst_unused:UNUSED_PAD src0_sel:DWORD src1_sel:WORD_1
	v_add_u16_sdwa v64, v58, v6 dst_sel:DWORD dst_unused:UNUSED_PAD src0_sel:DWORD src1_sel:BYTE_3
	v_add_u16_e32 v6, v64, v7
	v_add_u16_e32 v63, v6, v59
	v_add_u16_sdwa v59, v63, v7 dst_sel:DWORD dst_unused:UNUSED_PAD src0_sel:DWORD src1_sel:WORD_1
	v_add_u16_sdwa v7, v59, v7 dst_sel:DWORD dst_unused:UNUSED_PAD src0_sel:DWORD src1_sel:BYTE_3
	s_and_b64 vcc, exec, vcc
	v_lshlrev_b16_e32 v65, 8, v63
	v_lshlrev_b16_e32 v66, 8, v7
	v_lshlrev_b16_e32 v63, 8, v62
	v_lshlrev_b16_e32 v64, 8, v64
	v_lshlrev_b16_e32 v61, 8, v61
	v_lshlrev_b16_e32 v62, 8, v5
	v_lshlrev_b16_e32 v7, 8, v60
	v_lshlrev_b16_e32 v60, 8, v4
	v_lshl_add_u64 v[4:5], v[10:11], 0, v[8:9]
	s_barrier
	s_cbranch_vccz .LBB1_68
; %bb.46:                               ;   in Loop: Header=BB1_14 Depth=1
	v_or_b32_sdwa v67, v6, v65 dst_sel:DWORD dst_unused:UNUSED_PAD src0_sel:BYTE_0 src1_sel:DWORD
	v_or_b32_sdwa v68, v59, v66 dst_sel:WORD_1 dst_unused:UNUSED_PAD src0_sel:BYTE_0 src1_sel:DWORD
	v_cmp_gt_u32_e32 vcc, s48, v21
	v_or_b32_sdwa v71, v67, v68 dst_sel:DWORD dst_unused:UNUSED_PAD src0_sel:WORD_0 src1_sel:DWORD
	v_or_b32_sdwa v67, v57, v63 dst_sel:DWORD dst_unused:UNUSED_PAD src0_sel:BYTE_0 src1_sel:DWORD
	v_or_b32_sdwa v68, v58, v64 dst_sel:WORD_1 dst_unused:UNUSED_PAD src0_sel:BYTE_0 src1_sel:DWORD
	s_nop 0
	v_or_b32_sdwa v70, v67, v68 dst_sel:DWORD dst_unused:UNUSED_PAD src0_sel:WORD_0 src1_sel:DWORD
	v_or_b32_sdwa v67, v19, v61 dst_sel:DWORD dst_unused:UNUSED_PAD src0_sel:BYTE_0 src1_sel:DWORD
	v_or_b32_sdwa v68, v56, v62 dst_sel:WORD_1 dst_unused:UNUSED_PAD src0_sel:BYTE_0 src1_sel:DWORD
	s_nop 0
	;; [unrolled: 4-line block ×3, first 2 shown]
	v_or_b32_sdwa v68, v67, v68 dst_sel:DWORD dst_unused:UNUSED_PAD src0_sel:WORD_0 src1_sel:DWORD
	ds_write_b128 v53, v[68:71]
	; wave barrier
	ds_read_u8 v82, v37
	ds_read_u8 v81, v38
	;; [unrolled: 1-line block ×16, first 2 shown]
	s_and_saveexec_b64 s[30:31], vcc
	s_cbranch_execnz .LBB1_69
; %bb.47:                               ;   in Loop: Header=BB1_14 Depth=1
	s_or_b64 exec, exec, s[30:31]
	v_cmp_gt_u32_e32 vcc, s48, v22
	s_and_saveexec_b64 s[30:31], vcc
	s_cbranch_execnz .LBB1_70
.LBB1_48:                               ;   in Loop: Header=BB1_14 Depth=1
	s_or_b64 exec, exec, s[30:31]
	v_cmp_gt_u32_e32 vcc, s48, v23
	s_and_saveexec_b64 s[30:31], vcc
	s_cbranch_execnz .LBB1_71
.LBB1_49:                               ;   in Loop: Header=BB1_14 Depth=1
	s_or_b64 exec, exec, s[30:31]
	v_cmp_gt_u32_e32 vcc, s48, v24
	s_and_saveexec_b64 s[30:31], vcc
	s_cbranch_execnz .LBB1_72
.LBB1_50:                               ;   in Loop: Header=BB1_14 Depth=1
	s_or_b64 exec, exec, s[30:31]
	v_cmp_gt_u32_e32 vcc, s48, v25
	s_and_saveexec_b64 s[30:31], vcc
	s_cbranch_execnz .LBB1_73
.LBB1_51:                               ;   in Loop: Header=BB1_14 Depth=1
	s_or_b64 exec, exec, s[30:31]
	v_cmp_gt_u32_e32 vcc, s48, v26
	s_and_saveexec_b64 s[30:31], vcc
	s_cbranch_execnz .LBB1_74
.LBB1_52:                               ;   in Loop: Header=BB1_14 Depth=1
	s_or_b64 exec, exec, s[30:31]
	v_cmp_gt_u32_e32 vcc, s48, v27
	s_and_saveexec_b64 s[30:31], vcc
	s_cbranch_execnz .LBB1_75
.LBB1_53:                               ;   in Loop: Header=BB1_14 Depth=1
	s_or_b64 exec, exec, s[30:31]
	v_cmp_gt_u32_e32 vcc, s48, v28
	s_and_saveexec_b64 s[30:31], vcc
	s_cbranch_execnz .LBB1_76
.LBB1_54:                               ;   in Loop: Header=BB1_14 Depth=1
	s_or_b64 exec, exec, s[30:31]
	v_cmp_gt_u32_e32 vcc, s48, v29
	s_and_saveexec_b64 s[30:31], vcc
	s_cbranch_execnz .LBB1_77
.LBB1_55:                               ;   in Loop: Header=BB1_14 Depth=1
	s_or_b64 exec, exec, s[30:31]
	v_cmp_gt_u32_e32 vcc, s48, v30
	s_and_saveexec_b64 s[30:31], vcc
	s_cbranch_execnz .LBB1_78
.LBB1_56:                               ;   in Loop: Header=BB1_14 Depth=1
	s_or_b64 exec, exec, s[30:31]
	v_cmp_gt_u32_e32 vcc, s48, v31
	s_and_saveexec_b64 s[30:31], vcc
	s_cbranch_execnz .LBB1_79
.LBB1_57:                               ;   in Loop: Header=BB1_14 Depth=1
	s_or_b64 exec, exec, s[30:31]
	v_cmp_gt_u32_e32 vcc, s48, v32
	s_and_saveexec_b64 s[30:31], vcc
	s_cbranch_execnz .LBB1_80
.LBB1_58:                               ;   in Loop: Header=BB1_14 Depth=1
	s_or_b64 exec, exec, s[30:31]
	v_cmp_gt_u32_e32 vcc, s48, v33
	s_and_saveexec_b64 s[30:31], vcc
	s_cbranch_execnz .LBB1_81
.LBB1_59:                               ;   in Loop: Header=BB1_14 Depth=1
	s_or_b64 exec, exec, s[30:31]
	v_cmp_gt_u32_e32 vcc, s48, v34
	s_and_saveexec_b64 s[30:31], vcc
	s_cbranch_execnz .LBB1_82
.LBB1_60:                               ;   in Loop: Header=BB1_14 Depth=1
	s_or_b64 exec, exec, s[30:31]
	v_cmp_gt_u32_e32 vcc, s48, v35
	s_and_saveexec_b64 s[30:31], vcc
	s_cbranch_execz .LBB1_62
.LBB1_61:                               ;   in Loop: Header=BB1_14 Depth=1
	s_waitcnt lgkmcnt(1)
	global_store_byte v[4:5], v68, off offset:-64
.LBB1_62:                               ;   in Loop: Header=BB1_14 Depth=1
	s_or_b64 exec, exec, s[30:31]
	v_cmp_gt_u32_e64 s[30:31], s48, v36
	s_branch .LBB1_64
.LBB1_63:                               ;   in Loop: Header=BB1_14 Depth=1
	v_or_b32_sdwa v6, v6, v65 dst_sel:DWORD dst_unused:UNUSED_PAD src0_sel:BYTE_0 src1_sel:DWORD
	v_or_b32_sdwa v59, v59, v66 dst_sel:WORD_1 dst_unused:UNUSED_PAD src0_sel:BYTE_0 src1_sel:DWORD
	v_or_b32_sdwa v2, v2, v7 dst_sel:DWORD dst_unused:UNUSED_PAD src0_sel:BYTE_0 src1_sel:DWORD
	v_or_b32_sdwa v59, v6, v59 dst_sel:DWORD dst_unused:UNUSED_PAD src0_sel:WORD_0 src1_sel:DWORD
	v_or_b32_sdwa v6, v57, v63 dst_sel:DWORD dst_unused:UNUSED_PAD src0_sel:BYTE_0 src1_sel:DWORD
	v_or_b32_sdwa v57, v58, v64 dst_sel:WORD_1 dst_unused:UNUSED_PAD src0_sel:BYTE_0 src1_sel:DWORD
	s_or_b64 s[30:31], s[30:31], exec
	v_or_b32_sdwa v58, v6, v57 dst_sel:DWORD dst_unused:UNUSED_PAD src0_sel:WORD_0 src1_sel:DWORD
	v_or_b32_sdwa v6, v19, v61 dst_sel:DWORD dst_unused:UNUSED_PAD src0_sel:BYTE_0 src1_sel:DWORD
	v_or_b32_sdwa v19, v56, v62 dst_sel:WORD_1 dst_unused:UNUSED_PAD src0_sel:BYTE_0 src1_sel:DWORD
	s_nop 0
	v_or_b32_sdwa v57, v6, v19 dst_sel:DWORD dst_unused:UNUSED_PAD src0_sel:WORD_0 src1_sel:DWORD
	v_or_b32_sdwa v6, v18, v60 dst_sel:WORD_1 dst_unused:UNUSED_PAD src0_sel:BYTE_0 src1_sel:DWORD
	s_nop 0
	v_or_b32_sdwa v56, v2, v6 dst_sel:DWORD dst_unused:UNUSED_PAD src0_sel:WORD_0 src1_sel:DWORD
	ds_write_b128 v53, v[56:59]
	; wave barrier
	ds_read_u8 v2, v37
	ds_read_u8 v6, v38
	;; [unrolled: 1-line block ×15, first 2 shown]
	s_waitcnt lgkmcnt(14)
	ds_read_u8 v67, v52
	global_store_byte v[4:5], v2, off offset:-960
	s_waitcnt lgkmcnt(14)
	global_store_byte v[4:5], v6, off offset:-896
	s_waitcnt lgkmcnt(13)
	;; [unrolled: 2-line block ×14, first 2 shown]
	global_store_byte v[4:5], v65, off offset:-64
.LBB1_64:                               ;   in Loop: Header=BB1_14 Depth=1
	s_and_saveexec_b64 s[36:37], s[30:31]
	s_cbranch_execz .LBB1_66
; %bb.65:                               ;   in Loop: Header=BB1_14 Depth=1
	s_waitcnt lgkmcnt(0)
	global_store_byte v[4:5], v67, off
.LBB1_66:                               ;   in Loop: Header=BB1_14 Depth=1
	s_or_b64 exec, exec, s[36:37]
	v_mov_b64_e32 v[4:5], 0x2001
	v_cmp_lt_i64_e32 vcc, s[44:45], v[4:5]
	s_cbranch_vccz .LBB1_13
; %bb.67:
                                        ; implicit-def: $vgpr20
                                        ; implicit-def: $sgpr44_sgpr45
                                        ; implicit-def: $sgpr33
                                        ; implicit-def: $vgpr10_vgpr11
                                        ; implicit-def: $vgpr16_vgpr17
                                        ; implicit-def: $sgpr48
	s_branch .LBB1_98
.LBB1_68:                               ;   in Loop: Header=BB1_14 Depth=1
	s_mov_b64 s[30:31], 0
                                        ; implicit-def: $vgpr67
	s_cbranch_execnz .LBB1_63
	s_branch .LBB1_64
.LBB1_69:                               ;   in Loop: Header=BB1_14 Depth=1
	s_waitcnt lgkmcnt(14)
	global_store_byte v[4:5], v82, off offset:-960
	s_or_b64 exec, exec, s[30:31]
	v_cmp_gt_u32_e32 vcc, s48, v22
	s_and_saveexec_b64 s[30:31], vcc
	s_cbranch_execz .LBB1_48
.LBB1_70:                               ;   in Loop: Header=BB1_14 Depth=1
	s_waitcnt lgkmcnt(14)
	global_store_byte v[4:5], v81, off offset:-896
	s_or_b64 exec, exec, s[30:31]
	v_cmp_gt_u32_e32 vcc, s48, v23
	s_and_saveexec_b64 s[30:31], vcc
	s_cbranch_execz .LBB1_49
.LBB1_71:                               ;   in Loop: Header=BB1_14 Depth=1
	s_waitcnt lgkmcnt(13)
	global_store_byte v[4:5], v80, off offset:-832
	s_or_b64 exec, exec, s[30:31]
	v_cmp_gt_u32_e32 vcc, s48, v24
	s_and_saveexec_b64 s[30:31], vcc
	s_cbranch_execz .LBB1_50
.LBB1_72:                               ;   in Loop: Header=BB1_14 Depth=1
	s_waitcnt lgkmcnt(12)
	global_store_byte v[4:5], v79, off offset:-768
	s_or_b64 exec, exec, s[30:31]
	v_cmp_gt_u32_e32 vcc, s48, v25
	s_and_saveexec_b64 s[30:31], vcc
	s_cbranch_execz .LBB1_51
.LBB1_73:                               ;   in Loop: Header=BB1_14 Depth=1
	s_waitcnt lgkmcnt(11)
	global_store_byte v[4:5], v78, off offset:-704
	s_or_b64 exec, exec, s[30:31]
	v_cmp_gt_u32_e32 vcc, s48, v26
	s_and_saveexec_b64 s[30:31], vcc
	s_cbranch_execz .LBB1_52
.LBB1_74:                               ;   in Loop: Header=BB1_14 Depth=1
	s_waitcnt lgkmcnt(10)
	global_store_byte v[4:5], v77, off offset:-640
	s_or_b64 exec, exec, s[30:31]
	v_cmp_gt_u32_e32 vcc, s48, v27
	s_and_saveexec_b64 s[30:31], vcc
	s_cbranch_execz .LBB1_53
.LBB1_75:                               ;   in Loop: Header=BB1_14 Depth=1
	s_waitcnt lgkmcnt(9)
	global_store_byte v[4:5], v76, off offset:-576
	s_or_b64 exec, exec, s[30:31]
	v_cmp_gt_u32_e32 vcc, s48, v28
	s_and_saveexec_b64 s[30:31], vcc
	s_cbranch_execz .LBB1_54
.LBB1_76:                               ;   in Loop: Header=BB1_14 Depth=1
	s_waitcnt lgkmcnt(8)
	global_store_byte v[4:5], v75, off offset:-512
	s_or_b64 exec, exec, s[30:31]
	v_cmp_gt_u32_e32 vcc, s48, v29
	s_and_saveexec_b64 s[30:31], vcc
	s_cbranch_execz .LBB1_55
.LBB1_77:                               ;   in Loop: Header=BB1_14 Depth=1
	s_waitcnt lgkmcnt(7)
	global_store_byte v[4:5], v74, off offset:-448
	s_or_b64 exec, exec, s[30:31]
	v_cmp_gt_u32_e32 vcc, s48, v30
	s_and_saveexec_b64 s[30:31], vcc
	s_cbranch_execz .LBB1_56
.LBB1_78:                               ;   in Loop: Header=BB1_14 Depth=1
	s_waitcnt lgkmcnt(6)
	global_store_byte v[4:5], v73, off offset:-384
	s_or_b64 exec, exec, s[30:31]
	v_cmp_gt_u32_e32 vcc, s48, v31
	s_and_saveexec_b64 s[30:31], vcc
	s_cbranch_execz .LBB1_57
.LBB1_79:                               ;   in Loop: Header=BB1_14 Depth=1
	s_waitcnt lgkmcnt(5)
	global_store_byte v[4:5], v72, off offset:-320
	s_or_b64 exec, exec, s[30:31]
	v_cmp_gt_u32_e32 vcc, s48, v32
	s_and_saveexec_b64 s[30:31], vcc
	s_cbranch_execz .LBB1_58
.LBB1_80:                               ;   in Loop: Header=BB1_14 Depth=1
	s_waitcnt lgkmcnt(4)
	global_store_byte v[4:5], v71, off offset:-256
	s_or_b64 exec, exec, s[30:31]
	v_cmp_gt_u32_e32 vcc, s48, v33
	s_and_saveexec_b64 s[30:31], vcc
	s_cbranch_execz .LBB1_59
.LBB1_81:                               ;   in Loop: Header=BB1_14 Depth=1
	s_waitcnt lgkmcnt(3)
	global_store_byte v[4:5], v70, off offset:-192
	s_or_b64 exec, exec, s[30:31]
	v_cmp_gt_u32_e32 vcc, s48, v34
	s_and_saveexec_b64 s[30:31], vcc
	s_cbranch_execz .LBB1_60
.LBB1_82:                               ;   in Loop: Header=BB1_14 Depth=1
	s_waitcnt lgkmcnt(2)
	global_store_byte v[4:5], v69, off offset:-128
	s_or_b64 exec, exec, s[30:31]
	v_cmp_gt_u32_e32 vcc, s48, v35
	s_and_saveexec_b64 s[30:31], vcc
	s_cbranch_execnz .LBB1_61
	s_branch .LBB1_62
.LBB1_83:                               ;   in Loop: Header=BB1_14 Depth=1
	global_load_ubyte v2, v[18:19], off
	v_mov_b32_e32 v4, v3
	v_mov_b32_e32 v5, v3
	s_waitcnt vmcnt(0)
	v_and_b32_e32 v2, 0xffff, v2
	v_mov_b64_e32 v[6:7], v[4:5]
	v_mov_b64_e32 v[4:5], v[2:3]
	s_or_b64 exec, exec, s[36:37]
	v_cmp_gt_u32_e32 vcc, s48, v22
	s_and_saveexec_b64 s[30:31], vcc
	s_cbranch_execz .LBB1_17
.LBB1_84:                               ;   in Loop: Header=BB1_14 Depth=1
	global_load_ubyte v2, v[18:19], off offset:64
	s_waitcnt vmcnt(0)
	v_perm_b32 v4, v4, v2, s38
	s_or_b64 exec, exec, s[30:31]
	v_cmp_gt_u32_e32 vcc, s48, v23
	s_and_saveexec_b64 s[30:31], vcc
	s_cbranch_execz .LBB1_18
.LBB1_85:                               ;   in Loop: Header=BB1_14 Depth=1
	global_load_ubyte v2, v[18:19], off offset:128
	s_waitcnt vmcnt(0)
	v_perm_b32 v4, v4, v2, s39
	s_or_b64 exec, exec, s[30:31]
	v_cmp_gt_u32_e32 vcc, s48, v24
	s_and_saveexec_b64 s[30:31], vcc
	s_cbranch_execz .LBB1_19
.LBB1_86:                               ;   in Loop: Header=BB1_14 Depth=1
	global_load_ubyte v2, v[18:19], off offset:192
	s_waitcnt vmcnt(0)
	v_perm_b32 v4, v4, v2, s46
	s_or_b64 exec, exec, s[30:31]
	v_cmp_gt_u32_e32 vcc, s48, v25
	s_and_saveexec_b64 s[30:31], vcc
	s_cbranch_execz .LBB1_20
.LBB1_87:                               ;   in Loop: Header=BB1_14 Depth=1
	global_load_ubyte v2, v[18:19], off offset:256
	s_waitcnt vmcnt(0)
	v_perm_b32 v5, v2, v5, s47
	s_or_b64 exec, exec, s[30:31]
	v_cmp_gt_u32_e32 vcc, s48, v26
	s_and_saveexec_b64 s[30:31], vcc
	s_cbranch_execz .LBB1_21
.LBB1_88:                               ;   in Loop: Header=BB1_14 Depth=1
	global_load_ubyte v2, v[18:19], off offset:320
	s_waitcnt vmcnt(0)
	v_perm_b32 v5, v5, v2, s38
	s_or_b64 exec, exec, s[30:31]
	v_cmp_gt_u32_e32 vcc, s48, v27
	s_and_saveexec_b64 s[30:31], vcc
	s_cbranch_execz .LBB1_22
.LBB1_89:                               ;   in Loop: Header=BB1_14 Depth=1
	global_load_ubyte v2, v[18:19], off offset:384
	s_waitcnt vmcnt(0)
	v_perm_b32 v5, v5, v2, s39
	s_or_b64 exec, exec, s[30:31]
	v_cmp_gt_u32_e32 vcc, s48, v28
	s_and_saveexec_b64 s[30:31], vcc
	s_cbranch_execz .LBB1_23
.LBB1_90:                               ;   in Loop: Header=BB1_14 Depth=1
	global_load_ubyte v2, v[18:19], off offset:448
	s_waitcnt vmcnt(0)
	v_perm_b32 v5, v5, v2, s46
	s_or_b64 exec, exec, s[30:31]
	v_cmp_gt_u32_e32 vcc, s48, v29
	s_and_saveexec_b64 s[30:31], vcc
	s_cbranch_execz .LBB1_24
.LBB1_91:                               ;   in Loop: Header=BB1_14 Depth=1
	global_load_ubyte v2, v[18:19], off offset:512
	s_waitcnt vmcnt(0)
	v_perm_b32 v6, v2, v6, s47
	s_or_b64 exec, exec, s[30:31]
	v_cmp_gt_u32_e32 vcc, s48, v30
	s_and_saveexec_b64 s[30:31], vcc
	s_cbranch_execz .LBB1_25
.LBB1_92:                               ;   in Loop: Header=BB1_14 Depth=1
	global_load_ubyte v2, v[18:19], off offset:576
	s_waitcnt vmcnt(0)
	v_perm_b32 v6, v6, v2, s38
	s_or_b64 exec, exec, s[30:31]
	v_cmp_gt_u32_e32 vcc, s48, v31
	s_and_saveexec_b64 s[30:31], vcc
	s_cbranch_execz .LBB1_26
.LBB1_93:                               ;   in Loop: Header=BB1_14 Depth=1
	global_load_ubyte v2, v[18:19], off offset:640
	s_waitcnt vmcnt(0)
	v_perm_b32 v6, v6, v2, s39
	s_or_b64 exec, exec, s[30:31]
	v_cmp_gt_u32_e32 vcc, s48, v32
	s_and_saveexec_b64 s[30:31], vcc
	s_cbranch_execz .LBB1_27
.LBB1_94:                               ;   in Loop: Header=BB1_14 Depth=1
	global_load_ubyte v2, v[18:19], off offset:704
	s_waitcnt vmcnt(0)
	v_perm_b32 v6, v6, v2, s46
	s_or_b64 exec, exec, s[30:31]
	v_cmp_gt_u32_e32 vcc, s48, v33
	s_and_saveexec_b64 s[30:31], vcc
	s_cbranch_execz .LBB1_28
.LBB1_95:                               ;   in Loop: Header=BB1_14 Depth=1
	global_load_ubyte v2, v[18:19], off offset:768
	s_waitcnt vmcnt(0)
	v_perm_b32 v7, v2, v7, s47
	s_or_b64 exec, exec, s[30:31]
	v_cmp_gt_u32_e32 vcc, s48, v34
	s_and_saveexec_b64 s[30:31], vcc
	s_cbranch_execz .LBB1_29
.LBB1_96:                               ;   in Loop: Header=BB1_14 Depth=1
	global_load_ubyte v2, v[18:19], off offset:832
	s_waitcnt vmcnt(0)
	v_perm_b32 v7, v7, v2, s38
	s_or_b64 exec, exec, s[30:31]
	v_cmp_gt_u32_e32 vcc, s48, v35
	s_and_saveexec_b64 s[30:31], vcc
	s_cbranch_execz .LBB1_30
.LBB1_97:                               ;   in Loop: Header=BB1_14 Depth=1
	global_load_ubyte v2, v[18:19], off offset:896
	s_waitcnt vmcnt(0)
	v_perm_b32 v7, v7, v2, s39
	s_or_b64 exec, exec, s[30:31]
	v_cmp_gt_u32_e32 vcc, s48, v36
	s_and_saveexec_b64 s[30:31], vcc
	s_cbranch_execnz .LBB1_31
	s_branch .LBB1_32
.LBB1_98:
	s_endpgm
	.section	.rodata,"a",@progbits
	.p2align	6, 0x0
	.amdhsa_kernel _ZN2at4cuda3cub17final_scan_kernelILi512ELi16EhEEvPKT1_PS3_S6_li
		.amdhsa_group_segment_fixed_size 8448
		.amdhsa_private_segment_fixed_size 0
		.amdhsa_kernarg_size 296
		.amdhsa_user_sgpr_count 2
		.amdhsa_user_sgpr_dispatch_ptr 0
		.amdhsa_user_sgpr_queue_ptr 0
		.amdhsa_user_sgpr_kernarg_segment_ptr 1
		.amdhsa_user_sgpr_dispatch_id 0
		.amdhsa_user_sgpr_kernarg_preload_length 0
		.amdhsa_user_sgpr_kernarg_preload_offset 0
		.amdhsa_user_sgpr_private_segment_size 0
		.amdhsa_uses_dynamic_stack 0
		.amdhsa_enable_private_segment 0
		.amdhsa_system_sgpr_workgroup_id_x 1
		.amdhsa_system_sgpr_workgroup_id_y 0
		.amdhsa_system_sgpr_workgroup_id_z 0
		.amdhsa_system_sgpr_workgroup_info 0
		.amdhsa_system_vgpr_workitem_id 0
		.amdhsa_next_free_vgpr 83
		.amdhsa_next_free_sgpr 49
		.amdhsa_accum_offset 84
		.amdhsa_reserve_vcc 1
		.amdhsa_float_round_mode_32 0
		.amdhsa_float_round_mode_16_64 0
		.amdhsa_float_denorm_mode_32 3
		.amdhsa_float_denorm_mode_16_64 3
		.amdhsa_dx10_clamp 1
		.amdhsa_ieee_mode 1
		.amdhsa_fp16_overflow 0
		.amdhsa_tg_split 0
		.amdhsa_exception_fp_ieee_invalid_op 0
		.amdhsa_exception_fp_denorm_src 0
		.amdhsa_exception_fp_ieee_div_zero 0
		.amdhsa_exception_fp_ieee_overflow 0
		.amdhsa_exception_fp_ieee_underflow 0
		.amdhsa_exception_fp_ieee_inexact 0
		.amdhsa_exception_int_div_zero 0
	.end_amdhsa_kernel
	.section	.text._ZN2at4cuda3cub17final_scan_kernelILi512ELi16EhEEvPKT1_PS3_S6_li,"axG",@progbits,_ZN2at4cuda3cub17final_scan_kernelILi512ELi16EhEEvPKT1_PS3_S6_li,comdat
.Lfunc_end1:
	.size	_ZN2at4cuda3cub17final_scan_kernelILi512ELi16EhEEvPKT1_PS3_S6_li, .Lfunc_end1-_ZN2at4cuda3cub17final_scan_kernelILi512ELi16EhEEvPKT1_PS3_S6_li
                                        ; -- End function
	.section	.AMDGPU.csdata,"",@progbits
; Kernel info:
; codeLenInByte = 4884
; NumSgprs: 55
; NumVgprs: 83
; NumAgprs: 0
; TotalNumVgprs: 83
; ScratchSize: 0
; MemoryBound: 0
; FloatMode: 240
; IeeeMode: 1
; LDSByteSize: 8448 bytes/workgroup (compile time only)
; SGPRBlocks: 6
; VGPRBlocks: 10
; NumSGPRsForWavesPerEU: 55
; NumVGPRsForWavesPerEU: 83
; AccumOffset: 84
; Occupancy: 5
; WaveLimiterHint : 0
; COMPUTE_PGM_RSRC2:SCRATCH_EN: 0
; COMPUTE_PGM_RSRC2:USER_SGPR: 2
; COMPUTE_PGM_RSRC2:TRAP_HANDLER: 0
; COMPUTE_PGM_RSRC2:TGID_X_EN: 1
; COMPUTE_PGM_RSRC2:TGID_Y_EN: 0
; COMPUTE_PGM_RSRC2:TGID_Z_EN: 0
; COMPUTE_PGM_RSRC2:TIDIG_COMP_CNT: 0
; COMPUTE_PGM_RSRC3_GFX90A:ACCUM_OFFSET: 20
; COMPUTE_PGM_RSRC3_GFX90A:TG_SPLIT: 0
	.section	.text._ZN7rocprim17ROCPRIM_304000_NS6detail31init_lookback_scan_state_kernelINS1_19lookback_scan_stateIhLb1ELb1EEEEEvT_jjPNS5_10value_typeE,"axG",@progbits,_ZN7rocprim17ROCPRIM_304000_NS6detail31init_lookback_scan_state_kernelINS1_19lookback_scan_stateIhLb1ELb1EEEEEvT_jjPNS5_10value_typeE,comdat
	.protected	_ZN7rocprim17ROCPRIM_304000_NS6detail31init_lookback_scan_state_kernelINS1_19lookback_scan_stateIhLb1ELb1EEEEEvT_jjPNS5_10value_typeE ; -- Begin function _ZN7rocprim17ROCPRIM_304000_NS6detail31init_lookback_scan_state_kernelINS1_19lookback_scan_stateIhLb1ELb1EEEEEvT_jjPNS5_10value_typeE
	.globl	_ZN7rocprim17ROCPRIM_304000_NS6detail31init_lookback_scan_state_kernelINS1_19lookback_scan_stateIhLb1ELb1EEEEEvT_jjPNS5_10value_typeE
	.p2align	8
	.type	_ZN7rocprim17ROCPRIM_304000_NS6detail31init_lookback_scan_state_kernelINS1_19lookback_scan_stateIhLb1ELb1EEEEEvT_jjPNS5_10value_typeE,@function
_ZN7rocprim17ROCPRIM_304000_NS6detail31init_lookback_scan_state_kernelINS1_19lookback_scan_stateIhLb1ELb1EEEEEvT_jjPNS5_10value_typeE: ; @_ZN7rocprim17ROCPRIM_304000_NS6detail31init_lookback_scan_state_kernelINS1_19lookback_scan_stateIhLb1ELb1EEEEEvT_jjPNS5_10value_typeE
; %bb.0:
	s_load_dword s3, s[0:1], 0x24
	s_load_dwordx2 s[8:9], s[0:1], 0x10
	s_load_dwordx4 s[4:7], s[0:1], 0x0
	s_waitcnt lgkmcnt(0)
	s_and_b32 s0, s3, 0xffff
	s_mul_i32 s2, s2, s0
	s_cmp_eq_u64 s[8:9], 0
	v_add_u32_e32 v0, s2, v0
	s_cbranch_scc1 .LBB2_8
; %bb.1:
	s_cmp_lt_u32 s7, s6
	s_cselect_b32 s0, s7, 0
	s_mov_b32 s3, 0
	v_cmp_eq_u32_e32 vcc, s0, v0
	s_and_saveexec_b64 s[0:1], vcc
	s_cbranch_execz .LBB2_7
; %bb.2:
	s_add_i32 s2, s7, 64
	s_lshl_b64 s[2:3], s[2:3], 1
	s_add_u32 s2, s4, s2
	s_addc_u32 s3, s5, s3
	v_mov_b32_e32 v1, 0
	global_load_ushort v2, v1, s[2:3] sc1
	s_mov_b32 s7, 1
	s_movk_i32 s10, 0xff
	s_waitcnt vmcnt(0)
	v_cmp_lt_u16_e32 vcc, s10, v2
	s_cbranch_vccnz .LBB2_6
.LBB2_3:                                ; =>This Loop Header: Depth=1
                                        ;     Child Loop BB2_4 Depth 2
	s_max_u32 s11, s7, 1
.LBB2_4:                                ;   Parent Loop BB2_3 Depth=1
                                        ; =>  This Inner Loop Header: Depth=2
	s_add_i32 s11, s11, -1
	s_cmp_eq_u32 s11, 0
	s_sleep 1
	s_cbranch_scc0 .LBB2_4
; %bb.5:                                ;   in Loop: Header=BB2_3 Depth=1
	global_load_ushort v2, v1, s[2:3] sc1
	s_cmp_lt_u32 s7, 32
	s_cselect_b64 s[12:13], -1, 0
	s_cmp_lg_u64 s[12:13], 0
	s_addc_u32 s7, s7, 0
	s_waitcnt vmcnt(0)
	v_cmp_lt_u16_e32 vcc, s10, v2
	s_cbranch_vccz .LBB2_3
.LBB2_6:
	v_mov_b32_e32 v1, 0
	global_store_byte v1, v2, s[8:9]
.LBB2_7:
	s_or_b64 exec, exec, s[0:1]
.LBB2_8:
	v_cmp_gt_u32_e32 vcc, s6, v0
	s_and_saveexec_b64 s[0:1], vcc
	s_cbranch_execnz .LBB2_11
; %bb.9:
	s_or_b64 exec, exec, s[0:1]
	v_cmp_gt_u32_e32 vcc, 64, v0
	s_and_saveexec_b64 s[0:1], vcc
	s_cbranch_execnz .LBB2_12
.LBB2_10:
	s_endpgm
.LBB2_11:
	v_add_u32_e32 v2, 64, v0
	v_mov_b32_e32 v3, 0
	v_lshl_add_u64 v[4:5], v[2:3], 1, s[4:5]
	global_store_short v[4:5], v3, off
	s_or_b64 exec, exec, s[0:1]
	v_cmp_gt_u32_e32 vcc, 64, v0
	s_and_saveexec_b64 s[0:1], vcc
	s_cbranch_execz .LBB2_10
.LBB2_12:
	v_mov_b32_e32 v1, 0
	v_lshl_add_u64 v[0:1], v[0:1], 1, s[4:5]
	v_mov_b32_e32 v2, 0xffffff00
	global_store_short v[0:1], v2, off
	s_endpgm
	.section	.rodata,"a",@progbits
	.p2align	6, 0x0
	.amdhsa_kernel _ZN7rocprim17ROCPRIM_304000_NS6detail31init_lookback_scan_state_kernelINS1_19lookback_scan_stateIhLb1ELb1EEEEEvT_jjPNS5_10value_typeE
		.amdhsa_group_segment_fixed_size 0
		.amdhsa_private_segment_fixed_size 0
		.amdhsa_kernarg_size 280
		.amdhsa_user_sgpr_count 2
		.amdhsa_user_sgpr_dispatch_ptr 0
		.amdhsa_user_sgpr_queue_ptr 0
		.amdhsa_user_sgpr_kernarg_segment_ptr 1
		.amdhsa_user_sgpr_dispatch_id 0
		.amdhsa_user_sgpr_kernarg_preload_length 0
		.amdhsa_user_sgpr_kernarg_preload_offset 0
		.amdhsa_user_sgpr_private_segment_size 0
		.amdhsa_uses_dynamic_stack 0
		.amdhsa_enable_private_segment 0
		.amdhsa_system_sgpr_workgroup_id_x 1
		.amdhsa_system_sgpr_workgroup_id_y 0
		.amdhsa_system_sgpr_workgroup_id_z 0
		.amdhsa_system_sgpr_workgroup_info 0
		.amdhsa_system_vgpr_workitem_id 0
		.amdhsa_next_free_vgpr 6
		.amdhsa_next_free_sgpr 14
		.amdhsa_accum_offset 8
		.amdhsa_reserve_vcc 1
		.amdhsa_float_round_mode_32 0
		.amdhsa_float_round_mode_16_64 0
		.amdhsa_float_denorm_mode_32 3
		.amdhsa_float_denorm_mode_16_64 3
		.amdhsa_dx10_clamp 1
		.amdhsa_ieee_mode 1
		.amdhsa_fp16_overflow 0
		.amdhsa_tg_split 0
		.amdhsa_exception_fp_ieee_invalid_op 0
		.amdhsa_exception_fp_denorm_src 0
		.amdhsa_exception_fp_ieee_div_zero 0
		.amdhsa_exception_fp_ieee_overflow 0
		.amdhsa_exception_fp_ieee_underflow 0
		.amdhsa_exception_fp_ieee_inexact 0
		.amdhsa_exception_int_div_zero 0
	.end_amdhsa_kernel
	.section	.text._ZN7rocprim17ROCPRIM_304000_NS6detail31init_lookback_scan_state_kernelINS1_19lookback_scan_stateIhLb1ELb1EEEEEvT_jjPNS5_10value_typeE,"axG",@progbits,_ZN7rocprim17ROCPRIM_304000_NS6detail31init_lookback_scan_state_kernelINS1_19lookback_scan_stateIhLb1ELb1EEEEEvT_jjPNS5_10value_typeE,comdat
.Lfunc_end2:
	.size	_ZN7rocprim17ROCPRIM_304000_NS6detail31init_lookback_scan_state_kernelINS1_19lookback_scan_stateIhLb1ELb1EEEEEvT_jjPNS5_10value_typeE, .Lfunc_end2-_ZN7rocprim17ROCPRIM_304000_NS6detail31init_lookback_scan_state_kernelINS1_19lookback_scan_stateIhLb1ELb1EEEEEvT_jjPNS5_10value_typeE
                                        ; -- End function
	.section	.AMDGPU.csdata,"",@progbits
; Kernel info:
; codeLenInByte = 300
; NumSgprs: 20
; NumVgprs: 6
; NumAgprs: 0
; TotalNumVgprs: 6
; ScratchSize: 0
; MemoryBound: 0
; FloatMode: 240
; IeeeMode: 1
; LDSByteSize: 0 bytes/workgroup (compile time only)
; SGPRBlocks: 2
; VGPRBlocks: 0
; NumSGPRsForWavesPerEU: 20
; NumVGPRsForWavesPerEU: 6
; AccumOffset: 8
; Occupancy: 8
; WaveLimiterHint : 0
; COMPUTE_PGM_RSRC2:SCRATCH_EN: 0
; COMPUTE_PGM_RSRC2:USER_SGPR: 2
; COMPUTE_PGM_RSRC2:TRAP_HANDLER: 0
; COMPUTE_PGM_RSRC2:TGID_X_EN: 1
; COMPUTE_PGM_RSRC2:TGID_Y_EN: 0
; COMPUTE_PGM_RSRC2:TGID_Z_EN: 0
; COMPUTE_PGM_RSRC2:TIDIG_COMP_CNT: 0
; COMPUTE_PGM_RSRC3_GFX90A:ACCUM_OFFSET: 1
; COMPUTE_PGM_RSRC3_GFX90A:TG_SPLIT: 0
	.section	.text._ZN7rocprim17ROCPRIM_304000_NS6detail31init_lookback_scan_state_kernelINS1_19lookback_scan_stateIhLb0ELb1EEEEEvT_jjPNS5_10value_typeE,"axG",@progbits,_ZN7rocprim17ROCPRIM_304000_NS6detail31init_lookback_scan_state_kernelINS1_19lookback_scan_stateIhLb0ELb1EEEEEvT_jjPNS5_10value_typeE,comdat
	.protected	_ZN7rocprim17ROCPRIM_304000_NS6detail31init_lookback_scan_state_kernelINS1_19lookback_scan_stateIhLb0ELb1EEEEEvT_jjPNS5_10value_typeE ; -- Begin function _ZN7rocprim17ROCPRIM_304000_NS6detail31init_lookback_scan_state_kernelINS1_19lookback_scan_stateIhLb0ELb1EEEEEvT_jjPNS5_10value_typeE
	.globl	_ZN7rocprim17ROCPRIM_304000_NS6detail31init_lookback_scan_state_kernelINS1_19lookback_scan_stateIhLb0ELb1EEEEEvT_jjPNS5_10value_typeE
	.p2align	8
	.type	_ZN7rocprim17ROCPRIM_304000_NS6detail31init_lookback_scan_state_kernelINS1_19lookback_scan_stateIhLb0ELb1EEEEEvT_jjPNS5_10value_typeE,@function
_ZN7rocprim17ROCPRIM_304000_NS6detail31init_lookback_scan_state_kernelINS1_19lookback_scan_stateIhLb0ELb1EEEEEvT_jjPNS5_10value_typeE: ; @_ZN7rocprim17ROCPRIM_304000_NS6detail31init_lookback_scan_state_kernelINS1_19lookback_scan_stateIhLb0ELb1EEEEEvT_jjPNS5_10value_typeE
; %bb.0:
	s_load_dword s3, s[0:1], 0x24
	s_load_dwordx2 s[8:9], s[0:1], 0x10
	s_load_dwordx4 s[4:7], s[0:1], 0x0
	s_waitcnt lgkmcnt(0)
	s_and_b32 s0, s3, 0xffff
	s_mul_i32 s2, s2, s0
	s_cmp_eq_u64 s[8:9], 0
	v_add_u32_e32 v0, s2, v0
	s_cbranch_scc1 .LBB3_7
; %bb.1:
	s_cmp_lt_u32 s7, s6
	s_cselect_b32 s0, s7, 0
	s_mov_b32 s3, 0
	v_cmp_eq_u32_e32 vcc, s0, v0
	s_and_saveexec_b64 s[0:1], vcc
	s_cbranch_execz .LBB3_6
; %bb.2:
	s_add_i32 s2, s7, 64
	s_lshl_b64 s[2:3], s[2:3], 1
	s_add_u32 s2, s4, s2
	s_addc_u32 s3, s5, s3
	v_mov_b32_e32 v2, 0
	global_load_ushort v1, v2, s[2:3] sc1
	s_movk_i32 s7, 0xff
	s_waitcnt vmcnt(0)
	v_cmp_lt_u16_e32 vcc, s7, v1
	s_cbranch_vccnz .LBB3_5
; %bb.3:
	s_movk_i32 s7, 0x100
.LBB3_4:                                ; =>This Inner Loop Header: Depth=1
	global_load_ushort v1, v2, s[2:3] sc1
	s_waitcnt vmcnt(0)
	v_cmp_gt_u16_e32 vcc, s7, v1
	s_cbranch_vccnz .LBB3_4
.LBB3_5:
	v_mov_b32_e32 v2, 0
	global_store_byte v2, v1, s[8:9]
.LBB3_6:
	s_or_b64 exec, exec, s[0:1]
.LBB3_7:
	v_cmp_gt_u32_e32 vcc, s6, v0
	s_and_saveexec_b64 s[0:1], vcc
	s_cbranch_execnz .LBB3_10
; %bb.8:
	s_or_b64 exec, exec, s[0:1]
	v_cmp_gt_u32_e32 vcc, 64, v0
	s_and_saveexec_b64 s[0:1], vcc
	s_cbranch_execnz .LBB3_11
.LBB3_9:
	s_endpgm
.LBB3_10:
	v_add_u32_e32 v2, 64, v0
	v_mov_b32_e32 v3, 0
	v_lshl_add_u64 v[4:5], v[2:3], 1, s[4:5]
	global_store_short v[4:5], v3, off
	s_or_b64 exec, exec, s[0:1]
	v_cmp_gt_u32_e32 vcc, 64, v0
	s_and_saveexec_b64 s[0:1], vcc
	s_cbranch_execz .LBB3_9
.LBB3_11:
	v_mov_b32_e32 v1, 0
	v_lshl_add_u64 v[0:1], v[0:1], 1, s[4:5]
	v_mov_b32_e32 v2, 0xffffff00
	global_store_short v[0:1], v2, off
	s_endpgm
	.section	.rodata,"a",@progbits
	.p2align	6, 0x0
	.amdhsa_kernel _ZN7rocprim17ROCPRIM_304000_NS6detail31init_lookback_scan_state_kernelINS1_19lookback_scan_stateIhLb0ELb1EEEEEvT_jjPNS5_10value_typeE
		.amdhsa_group_segment_fixed_size 0
		.amdhsa_private_segment_fixed_size 0
		.amdhsa_kernarg_size 280
		.amdhsa_user_sgpr_count 2
		.amdhsa_user_sgpr_dispatch_ptr 0
		.amdhsa_user_sgpr_queue_ptr 0
		.amdhsa_user_sgpr_kernarg_segment_ptr 1
		.amdhsa_user_sgpr_dispatch_id 0
		.amdhsa_user_sgpr_kernarg_preload_length 0
		.amdhsa_user_sgpr_kernarg_preload_offset 0
		.amdhsa_user_sgpr_private_segment_size 0
		.amdhsa_uses_dynamic_stack 0
		.amdhsa_enable_private_segment 0
		.amdhsa_system_sgpr_workgroup_id_x 1
		.amdhsa_system_sgpr_workgroup_id_y 0
		.amdhsa_system_sgpr_workgroup_id_z 0
		.amdhsa_system_sgpr_workgroup_info 0
		.amdhsa_system_vgpr_workitem_id 0
		.amdhsa_next_free_vgpr 6
		.amdhsa_next_free_sgpr 10
		.amdhsa_accum_offset 8
		.amdhsa_reserve_vcc 1
		.amdhsa_float_round_mode_32 0
		.amdhsa_float_round_mode_16_64 0
		.amdhsa_float_denorm_mode_32 3
		.amdhsa_float_denorm_mode_16_64 3
		.amdhsa_dx10_clamp 1
		.amdhsa_ieee_mode 1
		.amdhsa_fp16_overflow 0
		.amdhsa_tg_split 0
		.amdhsa_exception_fp_ieee_invalid_op 0
		.amdhsa_exception_fp_denorm_src 0
		.amdhsa_exception_fp_ieee_div_zero 0
		.amdhsa_exception_fp_ieee_overflow 0
		.amdhsa_exception_fp_ieee_underflow 0
		.amdhsa_exception_fp_ieee_inexact 0
		.amdhsa_exception_int_div_zero 0
	.end_amdhsa_kernel
	.section	.text._ZN7rocprim17ROCPRIM_304000_NS6detail31init_lookback_scan_state_kernelINS1_19lookback_scan_stateIhLb0ELb1EEEEEvT_jjPNS5_10value_typeE,"axG",@progbits,_ZN7rocprim17ROCPRIM_304000_NS6detail31init_lookback_scan_state_kernelINS1_19lookback_scan_stateIhLb0ELb1EEEEEvT_jjPNS5_10value_typeE,comdat
.Lfunc_end3:
	.size	_ZN7rocprim17ROCPRIM_304000_NS6detail31init_lookback_scan_state_kernelINS1_19lookback_scan_stateIhLb0ELb1EEEEEvT_jjPNS5_10value_typeE, .Lfunc_end3-_ZN7rocprim17ROCPRIM_304000_NS6detail31init_lookback_scan_state_kernelINS1_19lookback_scan_stateIhLb0ELb1EEEEEvT_jjPNS5_10value_typeE
                                        ; -- End function
	.section	.AMDGPU.csdata,"",@progbits
; Kernel info:
; codeLenInByte = 264
; NumSgprs: 16
; NumVgprs: 6
; NumAgprs: 0
; TotalNumVgprs: 6
; ScratchSize: 0
; MemoryBound: 0
; FloatMode: 240
; IeeeMode: 1
; LDSByteSize: 0 bytes/workgroup (compile time only)
; SGPRBlocks: 1
; VGPRBlocks: 0
; NumSGPRsForWavesPerEU: 16
; NumVGPRsForWavesPerEU: 6
; AccumOffset: 8
; Occupancy: 8
; WaveLimiterHint : 0
; COMPUTE_PGM_RSRC2:SCRATCH_EN: 0
; COMPUTE_PGM_RSRC2:USER_SGPR: 2
; COMPUTE_PGM_RSRC2:TRAP_HANDLER: 0
; COMPUTE_PGM_RSRC2:TGID_X_EN: 1
; COMPUTE_PGM_RSRC2:TGID_Y_EN: 0
; COMPUTE_PGM_RSRC2:TGID_Z_EN: 0
; COMPUTE_PGM_RSRC2:TIDIG_COMP_CNT: 0
; COMPUTE_PGM_RSRC3_GFX90A:ACCUM_OFFSET: 1
; COMPUTE_PGM_RSRC3_GFX90A:TG_SPLIT: 0
	.section	.text._ZN7rocprim17ROCPRIM_304000_NS6detail20lookback_scan_kernelILNS1_25lookback_scan_determinismE0ELb0ENS1_19wrapped_scan_configINS0_14default_configEhEEPKhPhSt4plusIhEhhNS1_19lookback_scan_stateIhLb1ELb1EEEEEvT2_T3_mT5_T4_T7_jPT6_SK_bb,"axG",@progbits,_ZN7rocprim17ROCPRIM_304000_NS6detail20lookback_scan_kernelILNS1_25lookback_scan_determinismE0ELb0ENS1_19wrapped_scan_configINS0_14default_configEhEEPKhPhSt4plusIhEhhNS1_19lookback_scan_stateIhLb1ELb1EEEEEvT2_T3_mT5_T4_T7_jPT6_SK_bb,comdat
	.protected	_ZN7rocprim17ROCPRIM_304000_NS6detail20lookback_scan_kernelILNS1_25lookback_scan_determinismE0ELb0ENS1_19wrapped_scan_configINS0_14default_configEhEEPKhPhSt4plusIhEhhNS1_19lookback_scan_stateIhLb1ELb1EEEEEvT2_T3_mT5_T4_T7_jPT6_SK_bb ; -- Begin function _ZN7rocprim17ROCPRIM_304000_NS6detail20lookback_scan_kernelILNS1_25lookback_scan_determinismE0ELb0ENS1_19wrapped_scan_configINS0_14default_configEhEEPKhPhSt4plusIhEhhNS1_19lookback_scan_stateIhLb1ELb1EEEEEvT2_T3_mT5_T4_T7_jPT6_SK_bb
	.globl	_ZN7rocprim17ROCPRIM_304000_NS6detail20lookback_scan_kernelILNS1_25lookback_scan_determinismE0ELb0ENS1_19wrapped_scan_configINS0_14default_configEhEEPKhPhSt4plusIhEhhNS1_19lookback_scan_stateIhLb1ELb1EEEEEvT2_T3_mT5_T4_T7_jPT6_SK_bb
	.p2align	8
	.type	_ZN7rocprim17ROCPRIM_304000_NS6detail20lookback_scan_kernelILNS1_25lookback_scan_determinismE0ELb0ENS1_19wrapped_scan_configINS0_14default_configEhEEPKhPhSt4plusIhEhhNS1_19lookback_scan_stateIhLb1ELb1EEEEEvT2_T3_mT5_T4_T7_jPT6_SK_bb,@function
_ZN7rocprim17ROCPRIM_304000_NS6detail20lookback_scan_kernelILNS1_25lookback_scan_determinismE0ELb0ENS1_19wrapped_scan_configINS0_14default_configEhEEPKhPhSt4plusIhEhhNS1_19lookback_scan_stateIhLb1ELb1EEEEEvT2_T3_mT5_T4_T7_jPT6_SK_bb: ; @_ZN7rocprim17ROCPRIM_304000_NS6detail20lookback_scan_kernelILNS1_25lookback_scan_determinismE0ELb0ENS1_19wrapped_scan_configINS0_14default_configEhEEPKhPhSt4plusIhEhhNS1_19lookback_scan_stateIhLb1ELb1EEEEEvT2_T3_mT5_T4_T7_jPT6_SK_bb
; %bb.0:
	s_endpgm
	.section	.rodata,"a",@progbits
	.p2align	6, 0x0
	.amdhsa_kernel _ZN7rocprim17ROCPRIM_304000_NS6detail20lookback_scan_kernelILNS1_25lookback_scan_determinismE0ELb0ENS1_19wrapped_scan_configINS0_14default_configEhEEPKhPhSt4plusIhEhhNS1_19lookback_scan_stateIhLb1ELb1EEEEEvT2_T3_mT5_T4_T7_jPT6_SK_bb
		.amdhsa_group_segment_fixed_size 0
		.amdhsa_private_segment_fixed_size 0
		.amdhsa_kernarg_size 68
		.amdhsa_user_sgpr_count 2
		.amdhsa_user_sgpr_dispatch_ptr 0
		.amdhsa_user_sgpr_queue_ptr 0
		.amdhsa_user_sgpr_kernarg_segment_ptr 1
		.amdhsa_user_sgpr_dispatch_id 0
		.amdhsa_user_sgpr_kernarg_preload_length 0
		.amdhsa_user_sgpr_kernarg_preload_offset 0
		.amdhsa_user_sgpr_private_segment_size 0
		.amdhsa_uses_dynamic_stack 0
		.amdhsa_enable_private_segment 0
		.amdhsa_system_sgpr_workgroup_id_x 1
		.amdhsa_system_sgpr_workgroup_id_y 0
		.amdhsa_system_sgpr_workgroup_id_z 0
		.amdhsa_system_sgpr_workgroup_info 0
		.amdhsa_system_vgpr_workitem_id 0
		.amdhsa_next_free_vgpr 1
		.amdhsa_next_free_sgpr 0
		.amdhsa_accum_offset 4
		.amdhsa_reserve_vcc 0
		.amdhsa_float_round_mode_32 0
		.amdhsa_float_round_mode_16_64 0
		.amdhsa_float_denorm_mode_32 3
		.amdhsa_float_denorm_mode_16_64 3
		.amdhsa_dx10_clamp 1
		.amdhsa_ieee_mode 1
		.amdhsa_fp16_overflow 0
		.amdhsa_tg_split 0
		.amdhsa_exception_fp_ieee_invalid_op 0
		.amdhsa_exception_fp_denorm_src 0
		.amdhsa_exception_fp_ieee_div_zero 0
		.amdhsa_exception_fp_ieee_overflow 0
		.amdhsa_exception_fp_ieee_underflow 0
		.amdhsa_exception_fp_ieee_inexact 0
		.amdhsa_exception_int_div_zero 0
	.end_amdhsa_kernel
	.section	.text._ZN7rocprim17ROCPRIM_304000_NS6detail20lookback_scan_kernelILNS1_25lookback_scan_determinismE0ELb0ENS1_19wrapped_scan_configINS0_14default_configEhEEPKhPhSt4plusIhEhhNS1_19lookback_scan_stateIhLb1ELb1EEEEEvT2_T3_mT5_T4_T7_jPT6_SK_bb,"axG",@progbits,_ZN7rocprim17ROCPRIM_304000_NS6detail20lookback_scan_kernelILNS1_25lookback_scan_determinismE0ELb0ENS1_19wrapped_scan_configINS0_14default_configEhEEPKhPhSt4plusIhEhhNS1_19lookback_scan_stateIhLb1ELb1EEEEEvT2_T3_mT5_T4_T7_jPT6_SK_bb,comdat
.Lfunc_end4:
	.size	_ZN7rocprim17ROCPRIM_304000_NS6detail20lookback_scan_kernelILNS1_25lookback_scan_determinismE0ELb0ENS1_19wrapped_scan_configINS0_14default_configEhEEPKhPhSt4plusIhEhhNS1_19lookback_scan_stateIhLb1ELb1EEEEEvT2_T3_mT5_T4_T7_jPT6_SK_bb, .Lfunc_end4-_ZN7rocprim17ROCPRIM_304000_NS6detail20lookback_scan_kernelILNS1_25lookback_scan_determinismE0ELb0ENS1_19wrapped_scan_configINS0_14default_configEhEEPKhPhSt4plusIhEhhNS1_19lookback_scan_stateIhLb1ELb1EEEEEvT2_T3_mT5_T4_T7_jPT6_SK_bb
                                        ; -- End function
	.section	.AMDGPU.csdata,"",@progbits
; Kernel info:
; codeLenInByte = 4
; NumSgprs: 6
; NumVgprs: 0
; NumAgprs: 0
; TotalNumVgprs: 0
; ScratchSize: 0
; MemoryBound: 0
; FloatMode: 240
; IeeeMode: 1
; LDSByteSize: 0 bytes/workgroup (compile time only)
; SGPRBlocks: 0
; VGPRBlocks: 0
; NumSGPRsForWavesPerEU: 6
; NumVGPRsForWavesPerEU: 1
; AccumOffset: 4
; Occupancy: 8
; WaveLimiterHint : 0
; COMPUTE_PGM_RSRC2:SCRATCH_EN: 0
; COMPUTE_PGM_RSRC2:USER_SGPR: 2
; COMPUTE_PGM_RSRC2:TRAP_HANDLER: 0
; COMPUTE_PGM_RSRC2:TGID_X_EN: 1
; COMPUTE_PGM_RSRC2:TGID_Y_EN: 0
; COMPUTE_PGM_RSRC2:TGID_Z_EN: 0
; COMPUTE_PGM_RSRC2:TIDIG_COMP_CNT: 0
; COMPUTE_PGM_RSRC3_GFX90A:ACCUM_OFFSET: 0
; COMPUTE_PGM_RSRC3_GFX90A:TG_SPLIT: 0
	.section	.text._ZN7rocprim17ROCPRIM_304000_NS6detail20lookback_scan_kernelILNS1_25lookback_scan_determinismE0ELb0ENS1_19wrapped_scan_configINS0_14default_configEhEEPKhPhSt4plusIhEhhNS1_19lookback_scan_stateIhLb0ELb1EEEEEvT2_T3_mT5_T4_T7_jPT6_SK_bb,"axG",@progbits,_ZN7rocprim17ROCPRIM_304000_NS6detail20lookback_scan_kernelILNS1_25lookback_scan_determinismE0ELb0ENS1_19wrapped_scan_configINS0_14default_configEhEEPKhPhSt4plusIhEhhNS1_19lookback_scan_stateIhLb0ELb1EEEEEvT2_T3_mT5_T4_T7_jPT6_SK_bb,comdat
	.protected	_ZN7rocprim17ROCPRIM_304000_NS6detail20lookback_scan_kernelILNS1_25lookback_scan_determinismE0ELb0ENS1_19wrapped_scan_configINS0_14default_configEhEEPKhPhSt4plusIhEhhNS1_19lookback_scan_stateIhLb0ELb1EEEEEvT2_T3_mT5_T4_T7_jPT6_SK_bb ; -- Begin function _ZN7rocprim17ROCPRIM_304000_NS6detail20lookback_scan_kernelILNS1_25lookback_scan_determinismE0ELb0ENS1_19wrapped_scan_configINS0_14default_configEhEEPKhPhSt4plusIhEhhNS1_19lookback_scan_stateIhLb0ELb1EEEEEvT2_T3_mT5_T4_T7_jPT6_SK_bb
	.globl	_ZN7rocprim17ROCPRIM_304000_NS6detail20lookback_scan_kernelILNS1_25lookback_scan_determinismE0ELb0ENS1_19wrapped_scan_configINS0_14default_configEhEEPKhPhSt4plusIhEhhNS1_19lookback_scan_stateIhLb0ELb1EEEEEvT2_T3_mT5_T4_T7_jPT6_SK_bb
	.p2align	8
	.type	_ZN7rocprim17ROCPRIM_304000_NS6detail20lookback_scan_kernelILNS1_25lookback_scan_determinismE0ELb0ENS1_19wrapped_scan_configINS0_14default_configEhEEPKhPhSt4plusIhEhhNS1_19lookback_scan_stateIhLb0ELb1EEEEEvT2_T3_mT5_T4_T7_jPT6_SK_bb,@function
_ZN7rocprim17ROCPRIM_304000_NS6detail20lookback_scan_kernelILNS1_25lookback_scan_determinismE0ELb0ENS1_19wrapped_scan_configINS0_14default_configEhEEPKhPhSt4plusIhEhhNS1_19lookback_scan_stateIhLb0ELb1EEEEEvT2_T3_mT5_T4_T7_jPT6_SK_bb: ; @_ZN7rocprim17ROCPRIM_304000_NS6detail20lookback_scan_kernelILNS1_25lookback_scan_determinismE0ELb0ENS1_19wrapped_scan_configINS0_14default_configEhEEPKhPhSt4plusIhEhhNS1_19lookback_scan_stateIhLb0ELb1EEEEEvT2_T3_mT5_T4_T7_jPT6_SK_bb
; %bb.0:
	s_load_dword s3, s[0:1], 0x28
	s_load_dwordx2 s[4:5], s[0:1], 0x10
	s_load_dwordx4 s[12:15], s[0:1], 0x0
	s_mul_i32 s22, s2, 0x1800
	s_waitcnt lgkmcnt(0)
	s_add_i32 s3, s3, -1
	s_mul_i32 s6, s3, 0x1800
	s_sub_u32 s20, s4, s6
	s_subb_u32 s21, s5, 0
	s_cmp_lg_u32 s2, s3
	s_cselect_b64 s[16:17], -1, 0
	s_add_u32 s6, s12, s22
	s_addc_u32 s7, s13, 0
	s_mov_b64 s[4:5], -1
	s_and_b64 vcc, exec, s[16:17]
	s_cbranch_vccz .LBB5_2
; %bb.1:
	v_mov_b32_e32 v1, 0
	v_lshl_add_u64 v[2:3], s[6:7], 0, v[0:1]
	s_movk_i32 s3, 0x1000
	v_add_co_u32_e32 v2, vcc, s3, v2
	global_load_ubyte v1, v0, s[6:7]
	global_load_ubyte v4, v0, s[6:7] offset:256
	global_load_ubyte v5, v0, s[6:7] offset:512
	;; [unrolled: 1-line block ×15, first 2 shown]
	v_addc_co_u32_e32 v3, vcc, 0, v3, vcc
	global_load_ubyte v19, v[2:3], off
	global_load_ubyte v20, v[2:3], off offset:256
	global_load_ubyte v21, v[2:3], off offset:512
	;; [unrolled: 1-line block ×7, first 2 shown]
	s_mov_b64 s[4:5], 0
	s_waitcnt vmcnt(23)
	ds_write_b8 v0, v1
	s_waitcnt vmcnt(22)
	ds_write_b8 v0, v4 offset:256
	s_waitcnt vmcnt(21)
	ds_write_b8 v0, v5 offset:512
	;; [unrolled: 2-line block ×23, first 2 shown]
	s_waitcnt lgkmcnt(0)
	s_barrier
.LBB5_2:
	s_andn2_b64 vcc, exec, s[4:5]
	v_cmp_gt_u32_e64 s[4:5], s20, v0
	s_cbranch_vccnz .LBB5_52
; %bb.3:
	v_mov_b32_e32 v1, 0
	global_load_ubyte v4, v1, s[6:7]
	v_lshl_add_u64 v[2:3], s[6:7], 0, v[0:1]
	s_waitcnt vmcnt(0)
	v_mov_b32_e32 v1, v4
	s_and_saveexec_b64 s[6:7], s[4:5]
	s_cbranch_execz .LBB5_5
; %bb.4:
	global_load_ubyte v1, v[2:3], off
.LBB5_5:
	s_or_b64 exec, exec, s[6:7]
	v_or_b32_e32 v5, 0x100, v0
	v_cmp_gt_u32_e32 vcc, s20, v5
	v_mov_b32_e32 v5, v4
	s_and_saveexec_b64 s[4:5], vcc
	s_cbranch_execz .LBB5_7
; %bb.6:
	global_load_ubyte v5, v[2:3], off offset:256
.LBB5_7:
	s_or_b64 exec, exec, s[4:5]
	v_or_b32_e32 v6, 0x200, v0
	v_cmp_gt_u32_e32 vcc, s20, v6
	v_mov_b32_e32 v6, v4
	s_and_saveexec_b64 s[4:5], vcc
	s_cbranch_execz .LBB5_9
; %bb.8:
	global_load_ubyte v6, v[2:3], off offset:512
.LBB5_9:
	s_or_b64 exec, exec, s[4:5]
	v_or_b32_e32 v7, 0x300, v0
	v_cmp_gt_u32_e32 vcc, s20, v7
	v_mov_b32_e32 v7, v4
	s_and_saveexec_b64 s[4:5], vcc
	s_cbranch_execz .LBB5_11
; %bb.10:
	global_load_ubyte v7, v[2:3], off offset:768
.LBB5_11:
	s_or_b64 exec, exec, s[4:5]
	v_or_b32_e32 v8, 0x400, v0
	v_cmp_gt_u32_e32 vcc, s20, v8
	v_mov_b32_e32 v8, v4
	s_and_saveexec_b64 s[4:5], vcc
	s_cbranch_execz .LBB5_13
; %bb.12:
	global_load_ubyte v8, v[2:3], off offset:1024
.LBB5_13:
	s_or_b64 exec, exec, s[4:5]
	v_or_b32_e32 v9, 0x500, v0
	v_cmp_gt_u32_e32 vcc, s20, v9
	v_mov_b32_e32 v9, v4
	s_and_saveexec_b64 s[4:5], vcc
	s_cbranch_execz .LBB5_15
; %bb.14:
	global_load_ubyte v9, v[2:3], off offset:1280
.LBB5_15:
	s_or_b64 exec, exec, s[4:5]
	v_or_b32_e32 v10, 0x600, v0
	v_cmp_gt_u32_e32 vcc, s20, v10
	v_mov_b32_e32 v10, v4
	s_and_saveexec_b64 s[4:5], vcc
	s_cbranch_execz .LBB5_17
; %bb.16:
	global_load_ubyte v10, v[2:3], off offset:1536
.LBB5_17:
	s_or_b64 exec, exec, s[4:5]
	v_or_b32_e32 v11, 0x700, v0
	v_cmp_gt_u32_e32 vcc, s20, v11
	v_mov_b32_e32 v11, v4
	s_and_saveexec_b64 s[4:5], vcc
	s_cbranch_execz .LBB5_19
; %bb.18:
	global_load_ubyte v11, v[2:3], off offset:1792
.LBB5_19:
	s_or_b64 exec, exec, s[4:5]
	v_or_b32_e32 v12, 0x800, v0
	v_cmp_gt_u32_e32 vcc, s20, v12
	v_mov_b32_e32 v12, v4
	s_and_saveexec_b64 s[4:5], vcc
	s_cbranch_execz .LBB5_21
; %bb.20:
	global_load_ubyte v12, v[2:3], off offset:2048
.LBB5_21:
	s_or_b64 exec, exec, s[4:5]
	v_or_b32_e32 v13, 0x900, v0
	v_cmp_gt_u32_e32 vcc, s20, v13
	v_mov_b32_e32 v13, v4
	s_and_saveexec_b64 s[4:5], vcc
	s_cbranch_execz .LBB5_23
; %bb.22:
	global_load_ubyte v13, v[2:3], off offset:2304
.LBB5_23:
	s_or_b64 exec, exec, s[4:5]
	v_or_b32_e32 v14, 0xa00, v0
	v_cmp_gt_u32_e32 vcc, s20, v14
	v_mov_b32_e32 v14, v4
	s_and_saveexec_b64 s[4:5], vcc
	s_cbranch_execz .LBB5_25
; %bb.24:
	global_load_ubyte v14, v[2:3], off offset:2560
.LBB5_25:
	s_or_b64 exec, exec, s[4:5]
	v_or_b32_e32 v15, 0xb00, v0
	v_cmp_gt_u32_e32 vcc, s20, v15
	v_mov_b32_e32 v15, v4
	s_and_saveexec_b64 s[4:5], vcc
	s_cbranch_execz .LBB5_27
; %bb.26:
	global_load_ubyte v15, v[2:3], off offset:2816
.LBB5_27:
	s_or_b64 exec, exec, s[4:5]
	v_or_b32_e32 v16, 0xc00, v0
	v_cmp_gt_u32_e32 vcc, s20, v16
	v_mov_b32_e32 v16, v4
	s_and_saveexec_b64 s[4:5], vcc
	s_cbranch_execz .LBB5_29
; %bb.28:
	global_load_ubyte v16, v[2:3], off offset:3072
.LBB5_29:
	s_or_b64 exec, exec, s[4:5]
	v_or_b32_e32 v17, 0xd00, v0
	v_cmp_gt_u32_e32 vcc, s20, v17
	v_mov_b32_e32 v17, v4
	s_and_saveexec_b64 s[4:5], vcc
	s_cbranch_execz .LBB5_31
; %bb.30:
	global_load_ubyte v17, v[2:3], off offset:3328
.LBB5_31:
	s_or_b64 exec, exec, s[4:5]
	v_or_b32_e32 v18, 0xe00, v0
	v_cmp_gt_u32_e32 vcc, s20, v18
	v_mov_b32_e32 v18, v4
	s_and_saveexec_b64 s[4:5], vcc
	s_cbranch_execz .LBB5_33
; %bb.32:
	global_load_ubyte v18, v[2:3], off offset:3584
.LBB5_33:
	s_or_b64 exec, exec, s[4:5]
	v_or_b32_e32 v19, 0xf00, v0
	v_cmp_gt_u32_e32 vcc, s20, v19
	v_mov_b32_e32 v19, v4
	s_and_saveexec_b64 s[4:5], vcc
	s_cbranch_execz .LBB5_35
; %bb.34:
	global_load_ubyte v19, v[2:3], off offset:3840
.LBB5_35:
	s_or_b64 exec, exec, s[4:5]
	v_or_b32_e32 v20, 0x1000, v0
	v_cmp_gt_u32_e32 vcc, s20, v20
	v_mov_b32_e32 v20, v4
	s_and_saveexec_b64 s[4:5], vcc
	s_cbranch_execz .LBB5_37
; %bb.36:
	v_add_co_u32_e32 v20, vcc, 0x1000, v2
	s_nop 1
	v_addc_co_u32_e32 v21, vcc, 0, v3, vcc
	global_load_ubyte v20, v[20:21], off
.LBB5_37:
	s_or_b64 exec, exec, s[4:5]
	v_or_b32_e32 v21, 0x1100, v0
	v_cmp_gt_u32_e32 vcc, s20, v21
	v_mov_b32_e32 v21, v4
	s_and_saveexec_b64 s[4:5], vcc
	s_cbranch_execz .LBB5_39
; %bb.38:
	v_add_co_u32_e32 v22, vcc, 0x1000, v2
	s_nop 1
	v_addc_co_u32_e32 v23, vcc, 0, v3, vcc
	global_load_ubyte v21, v[22:23], off offset:256
.LBB5_39:
	s_or_b64 exec, exec, s[4:5]
	v_or_b32_e32 v22, 0x1200, v0
	v_cmp_gt_u32_e32 vcc, s20, v22
	v_mov_b32_e32 v22, v4
	s_and_saveexec_b64 s[4:5], vcc
	s_cbranch_execz .LBB5_41
; %bb.40:
	v_add_co_u32_e32 v22, vcc, 0x1000, v2
	s_nop 1
	v_addc_co_u32_e32 v23, vcc, 0, v3, vcc
	global_load_ubyte v22, v[22:23], off offset:512
.LBB5_41:
	;; [unrolled: 12-line block ×6, first 2 shown]
	s_or_b64 exec, exec, s[4:5]
	v_or_b32_e32 v27, 0x1700, v0
	v_cmp_gt_u32_e32 vcc, s20, v27
	s_and_saveexec_b64 s[4:5], vcc
	s_cbranch_execz .LBB5_51
; %bb.50:
	v_add_co_u32_e32 v2, vcc, 0x1000, v2
	s_nop 1
	v_addc_co_u32_e32 v3, vcc, 0, v3, vcc
	global_load_ubyte v4, v[2:3], off offset:1792
.LBB5_51:
	s_or_b64 exec, exec, s[4:5]
	s_waitcnt vmcnt(0)
	ds_write_b8 v0, v1
	ds_write_b8 v0, v5 offset:256
	ds_write_b8 v0, v6 offset:512
	;; [unrolled: 1-line block ×23, first 2 shown]
	s_waitcnt lgkmcnt(0)
	s_barrier
.LBB5_52:
	v_mul_u32_u24_e32 v14, 24, v0
	ds_read2_b64 v[2:5], v14 offset1:1
	ds_read_b64 v[6:7], v14 offset:16
	s_load_dwordx2 s[12:13], s[0:1], 0x20
	s_cmp_lg_u32 s2, 0
	v_mbcnt_lo_u32_b32 v22, -1, 0
	s_waitcnt lgkmcnt(0)
	v_lshrrev_b32_e32 v19, 8, v2
	v_lshrrev_b32_e32 v18, 8, v3
	;; [unrolled: 1-line block ×7, first 2 shown]
	v_or_b32_e32 v21, 63, v0
	s_barrier
	s_cbranch_scc0 .LBB5_79
; %bb.53:
	v_add_u16_e32 v8, v19, v2
	v_add_u16_sdwa v8, v8, v2 dst_sel:DWORD dst_unused:UNUSED_PAD src0_sel:DWORD src1_sel:WORD_1
	v_add_u16_sdwa v8, v8, v2 dst_sel:DWORD dst_unused:UNUSED_PAD src0_sel:DWORD src1_sel:BYTE_3
	v_add_u16_e32 v8, v8, v3
	v_add_u16_e32 v8, v8, v18
	v_add_u16_sdwa v8, v8, v3 dst_sel:DWORD dst_unused:UNUSED_PAD src0_sel:DWORD src1_sel:WORD_1
	v_add_u16_sdwa v8, v8, v3 dst_sel:DWORD dst_unused:UNUSED_PAD src0_sel:DWORD src1_sel:BYTE_3
	v_add_u16_e32 v8, v8, v4
	;; [unrolled: 4-line block ×5, first 2 shown]
	v_add_u16_e32 v8, v8, v1
	v_add_u16_sdwa v8, v8, v7 dst_sel:DWORD dst_unused:UNUSED_PAD src0_sel:DWORD src1_sel:WORD_1
	v_add_u16_sdwa v8, v8, v7 dst_sel:DWORD dst_unused:UNUSED_PAD src0_sel:DWORD src1_sel:BYTE_3
	v_mbcnt_hi_u32_b32 v9, -1, v22
	v_and_b32_e32 v10, 15, v9
	v_and_b32_e32 v11, 0xff, v8
	v_cmp_ne_u32_e32 vcc, 0, v10
	s_nop 0
	v_mov_b32_dpp v11, v11 row_shr:1 row_mask:0xf bank_mask:0xf
	v_cndmask_b32_e32 v11, 0, v11, vcc
	v_add_u16_e32 v8, v11, v8
	v_and_b32_e32 v11, 0xff, v8
	v_cmp_lt_u32_e32 vcc, 1, v10
	s_nop 0
	v_mov_b32_dpp v11, v11 row_shr:2 row_mask:0xf bank_mask:0xf
	v_cndmask_b32_e32 v11, 0, v11, vcc
	v_add_u16_e32 v8, v8, v11
	v_and_b32_e32 v11, 0xff, v8
	v_cmp_lt_u32_e32 vcc, 3, v10
	;; [unrolled: 6-line block ×3, first 2 shown]
	s_nop 0
	v_mov_b32_dpp v11, v11 row_shr:8 row_mask:0xf bank_mask:0xf
	v_cndmask_b32_e32 v10, 0, v11, vcc
	v_add_u16_e32 v8, v8, v10
	v_and_b32_e32 v10, 0xff, v8
	v_and_b32_e32 v11, 16, v9
	v_cmp_ne_u32_e32 vcc, 0, v11
	v_mov_b32_dpp v10, v10 row_bcast:15 row_mask:0xf bank_mask:0xf
	s_nop 0
	v_cndmask_b32_e32 v10, 0, v10, vcc
	v_add_u16_e32 v8, v8, v10
	v_and_b32_e32 v10, 0xff, v8
	v_cmp_lt_u32_e32 vcc, 31, v9
	s_nop 0
	v_mov_b32_dpp v10, v10 row_bcast:31 row_mask:0xf bank_mask:0xf
	v_cndmask_b32_e32 v10, 0, v10, vcc
	v_add_u16_e32 v8, v8, v10
	v_cmp_eq_u32_e32 vcc, v21, v0
	s_and_saveexec_b64 s[4:5], vcc
	s_cbranch_execz .LBB5_55
; %bb.54:
	ds_write_b8 v20, v8
.LBB5_55:
	s_or_b64 exec, exec, s[4:5]
	v_cmp_gt_u32_e32 vcc, 4, v0
	s_waitcnt lgkmcnt(0)
	s_barrier
	s_and_saveexec_b64 s[4:5], vcc
	s_cbranch_execz .LBB5_57
; %bb.56:
	ds_read_u8 v10, v0
	v_and_b32_e32 v11, 3, v9
	v_cmp_ne_u32_e32 vcc, 0, v11
	s_waitcnt lgkmcnt(0)
	v_and_b32_e32 v12, 0xff, v10
	s_nop 1
	v_mov_b32_dpp v12, v12 row_shr:1 row_mask:0xf bank_mask:0xf
	v_cndmask_b32_e32 v12, 0, v12, vcc
	v_add_u16_e32 v10, v12, v10
	v_and_b32_e32 v12, 0xff, v10
	v_cmp_lt_u32_e32 vcc, 1, v11
	s_nop 0
	v_mov_b32_dpp v12, v12 row_shr:2 row_mask:0xf bank_mask:0xf
	v_cndmask_b32_e32 v11, 0, v12, vcc
	v_add_u16_e32 v10, v10, v11
	ds_write_b8 v0, v10
.LBB5_57:
	s_or_b64 exec, exec, s[4:5]
	v_cmp_gt_u32_e32 vcc, 64, v0
	v_cmp_lt_u32_e64 s[4:5], 63, v0
	s_waitcnt lgkmcnt(0)
	s_barrier
	s_waitcnt lgkmcnt(0)
                                        ; implicit-def: $vgpr23
	s_and_saveexec_b64 s[6:7], s[4:5]
	s_cbranch_execz .LBB5_59
; %bb.58:
	v_add_u32_e32 v10, -1, v20
	ds_read_u8 v23, v10
	s_waitcnt lgkmcnt(0)
	v_add_u16_e32 v8, v23, v8
.LBB5_59:
	s_or_b64 exec, exec, s[6:7]
	v_add_u32_e32 v10, -1, v9
	v_and_b32_e32 v11, 64, v9
	v_cmp_lt_i32_e64 s[4:5], v10, v11
	v_and_b32_e32 v8, 0xff, v8
	s_nop 0
	v_cndmask_b32_e64 v10, v10, v9, s[4:5]
	v_lshlrev_b32_e32 v10, 2, v10
	ds_bpermute_b32 v24, v10, v8
	v_cmp_eq_u32_e64 s[4:5], 0, v9
	s_and_saveexec_b64 s[18:19], vcc
	s_cbranch_execz .LBB5_78
; %bb.60:
	v_mov_b32_e32 v11, 0
	ds_read_u8 v25, v11 offset:3
	s_and_saveexec_b64 s[6:7], s[4:5]
	s_cbranch_execz .LBB5_62
; %bb.61:
	s_add_i32 s8, s2, 64
	s_mov_b32 s9, 0
	s_lshl_b64 s[8:9], s[8:9], 1
	s_add_u32 s8, s12, s8
	s_movk_i32 s3, 0x100
	s_addc_u32 s9, s13, s9
	s_waitcnt lgkmcnt(0)
	v_or_b32_sdwa v8, v25, s3 dst_sel:DWORD dst_unused:UNUSED_PAD src0_sel:BYTE_0 src1_sel:DWORD
	global_store_short v11, v8, s[8:9] sc1
.LBB5_62:
	s_or_b64 exec, exec, s[6:7]
	v_xad_u32 v8, v9, -1, s2
	v_add_u32_e32 v10, 64, v8
	v_lshl_add_u64 v[10:11], v[10:11], 1, s[12:13]
	global_load_ushort v12, v[10:11], off sc1
	s_waitcnt vmcnt(0)
	v_lshrrev_b16_e32 v26, 8, v12
	v_cmp_eq_u16_e32 vcc, 0, v26
	s_and_saveexec_b64 s[6:7], vcc
	s_cbranch_execz .LBB5_66
; %bb.63:
	s_mov_b64 s[8:9], 0
	v_mov_b32_e32 v13, 0
.LBB5_64:                               ; =>This Inner Loop Header: Depth=1
	global_load_ushort v12, v[10:11], off sc1
	s_waitcnt vmcnt(0)
	v_cmp_ne_u16_sdwa s[10:11], v12, v13 src0_sel:BYTE_1 src1_sel:DWORD
	s_or_b64 s[8:9], s[10:11], s[8:9]
	v_lshrrev_b16_e32 v26, 8, v12
	s_andn2_b64 exec, exec, s[8:9]
	s_cbranch_execnz .LBB5_64
; %bb.65:
	s_or_b64 exec, exec, s[8:9]
.LBB5_66:
	s_or_b64 exec, exec, s[6:7]
	v_cmp_eq_u16_e32 vcc, 2, v26
	v_lshlrev_b64 v[10:11], v9, -1
	v_and_b32_e32 v37, 63, v9
	v_and_b32_e32 v13, vcc_hi, v11
	v_and_b32_e32 v28, vcc_lo, v10
	v_cmp_ne_u32_e32 vcc, 63, v37
	v_and_b32_e32 v29, 0xff, v12
	v_or_b32_e32 v13, 0x80000000, v13
	v_addc_co_u32_e32 v27, vcc, 0, v9, vcc
	v_lshlrev_b32_e32 v27, 2, v27
	ds_bpermute_b32 v30, v27, v29
	v_ffbl_b32_e32 v13, v13
	v_add_u32_e32 v13, 32, v13
	v_ffbl_b32_e32 v28, v28
	v_min_u32_e32 v13, v28, v13
	v_add_u32_e32 v28, 1, v9
	s_waitcnt lgkmcnt(0)
	v_add_u16_e32 v30, v12, v30
	v_and_b32_e32 v31, 0xff, v30
	v_cmp_le_u32_e32 vcc, v28, v13
	v_cmp_gt_u32_e64 s[6:7], 62, v37
	v_cmp_gt_u32_e64 s[8:9], 60, v37
	v_cndmask_b32_e32 v31, v29, v31, vcc
	v_cndmask_b32_e64 v29, 0, 1, s[6:7]
	v_lshlrev_b32_e32 v29, 1, v29
	v_add_lshl_u32 v29, v29, v9, 2
	ds_bpermute_b32 v32, v29, v31
	v_cndmask_b32_e32 v33, v12, v30, vcc
	v_add_u32_e32 v30, 2, v9
	v_cmp_le_u32_e64 s[6:7], v30, v13
	v_cmp_gt_u32_e64 s[10:11], 56, v37
	s_waitcnt lgkmcnt(0)
	v_add_u16_e32 v32, v33, v32
	v_and_b32_e32 v34, 0xff, v32
	v_cndmask_b32_e64 v34, v31, v34, s[6:7]
	v_cndmask_b32_e64 v31, 0, 1, s[8:9]
	v_lshlrev_b32_e32 v31, 2, v31
	v_add_lshl_u32 v31, v31, v9, 2
	ds_bpermute_b32 v35, v31, v34
	v_cndmask_b32_e64 v36, v33, v32, s[6:7]
	v_add_u32_e32 v32, 4, v9
	v_cmp_le_u32_e64 s[8:9], v32, v13
	s_waitcnt lgkmcnt(0)
	v_add_u16_e32 v35, v36, v35
	v_and_b32_e32 v33, 0xff, v35
	v_cndmask_b32_e64 v38, v34, v33, s[8:9]
	v_cndmask_b32_e64 v33, 0, 1, s[10:11]
	v_lshlrev_b32_e32 v33, 3, v33
	v_add_lshl_u32 v33, v33, v9, 2
	ds_bpermute_b32 v39, v33, v38
	v_cndmask_b32_e64 v36, v36, v35, s[8:9]
	v_add_u32_e32 v34, 8, v9
	s_or_b64 s[10:11], vcc, s[6:7]
	v_cmp_le_u32_e32 vcc, v34, v13
	s_waitcnt lgkmcnt(0)
	v_add_u16_e32 v39, v36, v39
	v_and_b32_e32 v35, 0xff, v39
	v_cmp_gt_u32_e64 s[6:7], 48, v37
	v_cndmask_b32_e32 v38, v38, v35, vcc
	v_cndmask_b32_e32 v41, v36, v39, vcc
	v_cndmask_b32_e64 v35, 0, 1, s[6:7]
	v_lshlrev_b32_e32 v35, 4, v35
	v_add_lshl_u32 v35, v35, v9, 2
	ds_bpermute_b32 v40, v35, v38
	s_or_b64 s[6:7], s[8:9], s[10:11]
	s_or_b64 s[8:9], vcc, s[6:7]
	v_cmp_gt_u32_e64 s[6:7], 32, v37
	v_add_u32_e32 v36, 16, v9
	s_waitcnt lgkmcnt(0)
	v_add_u16_e32 v40, v41, v40
	v_cndmask_b32_e64 v37, 0, 1, s[6:7]
	v_and_b32_e32 v39, 0xff, v40
	v_cmp_le_u32_e32 vcc, v36, v13
	v_lshlrev_b32_e32 v37, 5, v37
	s_or_b64 s[6:7], vcc, s[8:9]
	v_cndmask_b32_e32 v39, v38, v39, vcc
	v_add_lshl_u32 v38, v37, v9, 2
	ds_bpermute_b32 v37, v38, v39
	v_add_u32_e32 v39, 32, v9
	v_cndmask_b32_e32 v9, v41, v40, vcc
	v_cmp_le_u32_e32 vcc, v39, v13
	v_mov_b32_e32 v40, 2
	s_waitcnt lgkmcnt(0)
	v_cndmask_b32_e32 v13, 0, v37, vcc
	v_add_u16_e32 v9, v9, v13
	s_or_b64 vcc, vcc, s[6:7]
	v_cndmask_b32_e32 v12, v12, v9, vcc
	v_mov_b32_e32 v9, 0
	s_branch .LBB5_68
.LBB5_67:                               ;   in Loop: Header=BB5_68 Depth=1
	s_or_b64 exec, exec, s[6:7]
	v_and_b32_e32 v42, 0xff, v41
	v_cmp_eq_u16_e32 vcc, 2, v26
	ds_bpermute_b32 v43, v27, v42
	v_subrev_u32_e32 v8, 64, v8
	v_and_b32_e32 v12, vcc_hi, v11
	v_or_b32_e32 v12, 0x80000000, v12
	v_and_b32_e32 v13, vcc_lo, v10
	v_ffbl_b32_e32 v12, v12
	v_add_u32_e32 v12, 32, v12
	v_ffbl_b32_e32 v13, v13
	v_min_u32_e32 v12, v13, v12
	s_waitcnt lgkmcnt(0)
	v_add_u16_e32 v13, v41, v43
	v_and_b32_e32 v43, 0xff, v13
	v_cmp_le_u32_e32 vcc, v28, v12
	v_cmp_le_u32_e64 s[6:7], v30, v12
	v_cmp_le_u32_e64 s[8:9], v32, v12
	v_cndmask_b32_e32 v42, v42, v43, vcc
	ds_bpermute_b32 v43, v29, v42
	v_cndmask_b32_e32 v13, v41, v13, vcc
	v_cmp_le_u32_e64 s[10:11], v34, v12
	s_waitcnt lgkmcnt(0)
	v_add_u16_e32 v43, v13, v43
	v_and_b32_e32 v44, 0xff, v43
	v_cndmask_b32_e64 v42, v42, v44, s[6:7]
	ds_bpermute_b32 v44, v31, v42
	v_cndmask_b32_e64 v13, v13, v43, s[6:7]
	s_or_b64 s[6:7], vcc, s[6:7]
	v_cmp_le_u32_e32 vcc, v36, v12
	s_or_b64 s[6:7], s[8:9], s[6:7]
	s_waitcnt lgkmcnt(0)
	v_add_u16_e32 v43, v13, v44
	v_and_b32_e32 v44, 0xff, v43
	v_cndmask_b32_e64 v42, v42, v44, s[8:9]
	ds_bpermute_b32 v44, v33, v42
	v_cndmask_b32_e64 v13, v13, v43, s[8:9]
	s_or_b64 s[6:7], s[10:11], s[6:7]
	s_or_b64 s[6:7], vcc, s[6:7]
	s_waitcnt lgkmcnt(0)
	v_add_u16_e32 v43, v13, v44
	v_and_b32_e32 v44, 0xff, v43
	v_cndmask_b32_e64 v42, v42, v44, s[10:11]
	ds_bpermute_b32 v44, v35, v42
	v_cndmask_b32_e64 v13, v13, v43, s[10:11]
	s_waitcnt lgkmcnt(0)
	v_add_u16_e32 v43, v13, v44
	v_and_b32_e32 v44, 0xff, v43
	v_cndmask_b32_e32 v42, v42, v44, vcc
	ds_bpermute_b32 v42, v38, v42
	v_cndmask_b32_e32 v13, v13, v43, vcc
	v_cmp_le_u32_e32 vcc, v39, v12
	s_waitcnt lgkmcnt(0)
	s_nop 0
	v_cndmask_b32_e32 v12, 0, v42, vcc
	v_add_u16_e32 v12, v13, v12
	s_or_b64 vcc, vcc, s[6:7]
	v_cndmask_b32_e32 v12, v41, v12, vcc
	v_add_u16_e32 v12, v12, v37
.LBB5_68:                               ; =>This Loop Header: Depth=1
                                        ;     Child Loop BB5_71 Depth 2
	v_cmp_ne_u16_sdwa s[6:7], v26, v40 src0_sel:BYTE_0 src1_sel:DWORD
	v_mov_b32_e32 v37, v12
	s_nop 0
	v_cndmask_b32_e64 v13, 0, 1, s[6:7]
	;;#ASMSTART
	;;#ASMEND
	s_nop 0
	v_cmp_ne_u32_e32 vcc, 0, v13
	s_cmp_lg_u64 vcc, exec
	s_cbranch_scc1 .LBB5_73
; %bb.69:                               ;   in Loop: Header=BB5_68 Depth=1
	v_lshl_add_u64 v[12:13], v[8:9], 1, s[12:13]
	global_load_ushort v41, v[12:13], off sc1
	s_waitcnt vmcnt(0)
	v_lshrrev_b16_e32 v26, 8, v41
	v_cmp_eq_u16_e32 vcc, 0, v26
	s_and_saveexec_b64 s[6:7], vcc
	s_cbranch_execz .LBB5_67
; %bb.70:                               ;   in Loop: Header=BB5_68 Depth=1
	s_mov_b64 s[8:9], 0
.LBB5_71:                               ;   Parent Loop BB5_68 Depth=1
                                        ; =>  This Inner Loop Header: Depth=2
	global_load_ushort v41, v[12:13], off sc1
	s_waitcnt vmcnt(0)
	v_lshrrev_b16_e32 v26, 8, v41
	v_cmp_ne_u16_e32 vcc, 0, v26
	s_or_b64 s[8:9], vcc, s[8:9]
	s_andn2_b64 exec, exec, s[8:9]
	s_cbranch_execnz .LBB5_71
; %bb.72:                               ;   in Loop: Header=BB5_68 Depth=1
	s_or_b64 exec, exec, s[8:9]
	s_branch .LBB5_67
.LBB5_73:                               ;   in Loop: Header=BB5_68 Depth=1
                                        ; implicit-def: $vgpr12
                                        ; implicit-def: $vgpr26
	s_cbranch_execz .LBB5_68
; %bb.74:
	s_and_saveexec_b64 s[6:7], s[4:5]
	s_cbranch_execz .LBB5_76
; %bb.75:
	s_add_i32 s2, s2, 64
	s_mov_b32 s3, 0
	s_lshl_b64 s[2:3], s[2:3], 1
	s_add_u32 s2, s12, s2
	v_add_u16_e32 v9, v37, v25
	s_movk_i32 s8, 0x200
	s_addc_u32 s3, s13, s3
	v_mov_b32_e32 v8, 0
	v_or_b32_sdwa v9, v9, s8 dst_sel:DWORD dst_unused:UNUSED_PAD src0_sel:BYTE_0 src1_sel:DWORD
	global_store_short v8, v9, s[2:3] sc1
.LBB5_76:
	s_or_b64 exec, exec, s[6:7]
	v_cmp_eq_u32_e32 vcc, 0, v0
	s_and_b64 exec, exec, vcc
	s_cbranch_execz .LBB5_78
; %bb.77:
	v_mov_b32_e32 v8, 0
	ds_write_b8 v8, v37 offset:3
.LBB5_78:
	s_or_b64 exec, exec, s[18:19]
	v_mov_b32_e32 v8, 0
	s_waitcnt lgkmcnt(0)
	s_barrier
	ds_read_u8 v8, v8 offset:3
	v_cndmask_b32_e64 v9, v24, v23, s[4:5]
	v_cmp_ne_u32_e32 vcc, 0, v0
	s_nop 1
	v_cndmask_b32_e32 v9, 0, v9, vcc
	v_add_u16_e32 v9, v9, v2
	s_waitcnt lgkmcnt(0)
	v_add_u16_e32 v8, v9, v8
	s_load_dwordx4 s[4:7], s[0:1], 0x30
	s_branch .LBB5_91
.LBB5_79:
                                        ; implicit-def: $vgpr8
	s_load_dwordx4 s[4:7], s[0:1], 0x30
	s_cbranch_execz .LBB5_91
; %bb.80:
	s_load_dword s2, s[0:1], 0x40
	v_cmp_eq_u32_e32 vcc, 0, v0
	v_mov_b32_e32 v8, v2
	s_waitcnt lgkmcnt(0)
	s_bitcmp1_b32 s2, 0
	s_cselect_b64 s[2:3], -1, 0
	s_and_b64 s[8:9], vcc, s[2:3]
	s_and_saveexec_b64 s[2:3], s[8:9]
	s_cbranch_execz .LBB5_82
; %bb.81:
	v_mov_b32_e32 v8, 0
	global_load_ubyte v8, v8, s[4:5]
	s_waitcnt vmcnt(0)
	v_add_u16_e32 v8, v8, v2
.LBB5_82:
	s_or_b64 exec, exec, s[2:3]
	v_add_u16_sdwa v9, v2, v19 dst_sel:DWORD dst_unused:UNUSED_PAD src0_sel:WORD_1 src1_sel:DWORD
	v_add_u16_sdwa v9, v9, v2 dst_sel:DWORD dst_unused:UNUSED_PAD src0_sel:DWORD src1_sel:BYTE_3
	v_add_u16_e32 v9, v9, v3
	v_add_u16_e32 v9, v9, v18
	v_add_u16_sdwa v9, v9, v3 dst_sel:DWORD dst_unused:UNUSED_PAD src0_sel:DWORD src1_sel:WORD_1
	v_add_u16_sdwa v9, v9, v3 dst_sel:DWORD dst_unused:UNUSED_PAD src0_sel:DWORD src1_sel:BYTE_3
	v_add_u16_e32 v9, v9, v4
	v_add_u16_e32 v9, v9, v17
	v_add_u16_sdwa v9, v9, v4 dst_sel:DWORD dst_unused:UNUSED_PAD src0_sel:DWORD src1_sel:WORD_1
	;; [unrolled: 4-line block ×5, first 2 shown]
	v_add_u16_sdwa v9, v9, v7 dst_sel:DWORD dst_unused:UNUSED_PAD src0_sel:DWORD src1_sel:BYTE_3
	v_add_u16_e32 v10, v9, v8
	v_mbcnt_hi_u32_b32 v9, -1, v22
	v_and_b32_e32 v11, 15, v9
	v_and_b32_e32 v12, 0xff, v10
	v_cmp_ne_u32_e64 s[2:3], 0, v11
	s_nop 0
	v_mov_b32_dpp v12, v12 row_shr:1 row_mask:0xf bank_mask:0xf
	v_cndmask_b32_e64 v12, 0, v12, s[2:3]
	v_add_u16_e32 v10, v10, v12
	v_and_b32_e32 v12, 0xff, v10
	v_cmp_lt_u32_e64 s[2:3], 1, v11
	s_nop 0
	v_mov_b32_dpp v12, v12 row_shr:2 row_mask:0xf bank_mask:0xf
	v_cndmask_b32_e64 v12, 0, v12, s[2:3]
	v_add_u16_e32 v10, v10, v12
	v_and_b32_e32 v12, 0xff, v10
	v_cmp_lt_u32_e64 s[2:3], 3, v11
	;; [unrolled: 6-line block ×3, first 2 shown]
	s_nop 0
	v_mov_b32_dpp v12, v12 row_shr:8 row_mask:0xf bank_mask:0xf
	v_cndmask_b32_e64 v11, 0, v12, s[2:3]
	v_add_u16_e32 v10, v10, v11
	v_and_b32_e32 v11, 0xff, v10
	v_and_b32_e32 v12, 16, v9
	v_cmp_ne_u32_e64 s[2:3], 0, v12
	v_mov_b32_dpp v11, v11 row_bcast:15 row_mask:0xf bank_mask:0xf
	s_nop 0
	v_cndmask_b32_e64 v11, 0, v11, s[2:3]
	v_add_u16_e32 v10, v10, v11
	v_and_b32_e32 v11, 0xff, v10
	v_cmp_lt_u32_e64 s[2:3], 31, v9
	s_nop 0
	v_mov_b32_dpp v11, v11 row_bcast:31 row_mask:0xf bank_mask:0xf
	v_cndmask_b32_e64 v11, 0, v11, s[2:3]
	v_add_u16_e32 v10, v10, v11
	v_cmp_eq_u32_e64 s[2:3], v21, v0
	s_and_saveexec_b64 s[4:5], s[2:3]
	s_cbranch_execz .LBB5_84
; %bb.83:
	ds_write_b8 v20, v10
.LBB5_84:
	s_or_b64 exec, exec, s[4:5]
	v_cmp_gt_u32_e64 s[2:3], 4, v0
	s_waitcnt lgkmcnt(0)
	s_barrier
	s_and_saveexec_b64 s[4:5], s[2:3]
	s_cbranch_execz .LBB5_86
; %bb.85:
	ds_read_u8 v11, v0
	v_and_b32_e32 v12, 3, v9
	v_cmp_ne_u32_e64 s[2:3], 0, v12
	s_waitcnt lgkmcnt(0)
	v_and_b32_e32 v13, 0xff, v11
	s_nop 1
	v_mov_b32_dpp v13, v13 row_shr:1 row_mask:0xf bank_mask:0xf
	v_cndmask_b32_e64 v13, 0, v13, s[2:3]
	v_add_u16_e32 v11, v13, v11
	v_and_b32_e32 v13, 0xff, v11
	v_cmp_lt_u32_e64 s[2:3], 1, v12
	s_nop 0
	v_mov_b32_dpp v13, v13 row_shr:2 row_mask:0xf bank_mask:0xf
	v_cndmask_b32_e64 v12, 0, v13, s[2:3]
	v_add_u16_e32 v11, v11, v12
	ds_write_b8 v0, v11
.LBB5_86:
	s_or_b64 exec, exec, s[4:5]
	v_cmp_lt_u32_e64 s[2:3], 63, v0
	s_waitcnt lgkmcnt(0)
	s_barrier
	s_waitcnt lgkmcnt(0)
                                        ; implicit-def: $vgpr11
	s_and_saveexec_b64 s[4:5], s[2:3]
	s_cbranch_execz .LBB5_88
; %bb.87:
	v_add_u32_e32 v11, -1, v20
	ds_read_u8 v11, v11
	s_waitcnt lgkmcnt(0)
	v_add_u16_e32 v10, v11, v10
.LBB5_88:
	s_or_b64 exec, exec, s[4:5]
	v_add_u32_e32 v12, -1, v9
	v_and_b32_e32 v13, 64, v9
	v_cmp_lt_i32_e64 s[2:3], v12, v13
	v_and_b32_e32 v10, 0xff, v10
	s_nop 0
	v_cndmask_b32_e64 v12, v12, v9, s[2:3]
	v_lshlrev_b32_e32 v12, 2, v12
	ds_bpermute_b32 v10, v12, v10
	v_cmp_eq_u32_e64 s[2:3], 0, v9
	s_waitcnt lgkmcnt(0)
	s_nop 0
	v_cndmask_b32_e64 v9, v10, v11, s[2:3]
	v_cndmask_b32_e64 v9, v9, 0, vcc
	s_and_saveexec_b64 s[2:3], vcc
	s_cbranch_execz .LBB5_90
; %bb.89:
	v_mov_b32_e32 v10, 0
	ds_read_u8 v11, v10 offset:3
	s_waitcnt lgkmcnt(0)
	v_or_b32_e32 v11, 0x200, v11
	global_store_short v10, v11, s[12:13] offset:128 sc1
.LBB5_90:
	s_or_b64 exec, exec, s[2:3]
	v_add_u16_e32 v8, v9, v8
.LBB5_91:
	v_add_u16_e32 v19, v8, v19
	v_add_u16_sdwa v9, v19, v2 dst_sel:DWORD dst_unused:UNUSED_PAD src0_sel:DWORD src1_sel:WORD_1
	v_add_u16_sdwa v20, v9, v2 dst_sel:DWORD dst_unused:UNUSED_PAD src0_sel:DWORD src1_sel:BYTE_3
	v_add_u16_e32 v10, v20, v3
	v_add_u16_e32 v18, v10, v18
	v_add_u16_sdwa v11, v18, v3 dst_sel:DWORD dst_unused:UNUSED_PAD src0_sel:DWORD src1_sel:WORD_1
	v_add_u16_sdwa v22, v11, v3 dst_sel:DWORD dst_unused:UNUSED_PAD src0_sel:DWORD src1_sel:BYTE_3
	v_add_u16_e32 v12, v22, v4
	;; [unrolled: 4-line block ×5, first 2 shown]
	v_add_u16_e32 v1, v4, v1
	v_add_u16_sdwa v5, v1, v7 dst_sel:DWORD dst_unused:UNUSED_PAD src0_sel:DWORD src1_sel:WORD_1
	v_add_u16_sdwa v6, v5, v7 dst_sel:DWORD dst_unused:UNUSED_PAD src0_sel:DWORD src1_sel:BYTE_3
	s_add_u32 s2, s14, s22
	s_addc_u32 s3, s15, 0
	s_waitcnt lgkmcnt(0)
	s_mov_b64 s[4:5], -1
	s_and_b64 vcc, exec, s[16:17]
	v_lshlrev_b16_e32 v25, 8, v23
	v_lshlrev_b16_e32 v26, 8, v26
	;; [unrolled: 1-line block ×12, first 2 shown]
	s_barrier
	s_cbranch_vccz .LBB5_93
; %bb.92:
	v_or_b32_sdwa v1, v17, v25 dst_sel:DWORD dst_unused:UNUSED_PAD src0_sel:BYTE_0 src1_sel:DWORD
	v_or_b32_sdwa v27, v16, v26 dst_sel:WORD_1 dst_unused:UNUSED_PAD src0_sel:BYTE_0 src1_sel:DWORD
	s_mov_b64 s[4:5], 0
	v_or_b32_sdwa v29, v1, v27 dst_sel:DWORD dst_unused:UNUSED_PAD src0_sel:WORD_0 src1_sel:DWORD
	v_or_b32_sdwa v1, v12, v23 dst_sel:DWORD dst_unused:UNUSED_PAD src0_sel:BYTE_0 src1_sel:DWORD
	v_or_b32_sdwa v27, v13, v24 dst_sel:WORD_1 dst_unused:UNUSED_PAD src0_sel:BYTE_0 src1_sel:DWORD
	s_nop 0
	v_or_b32_sdwa v28, v1, v27 dst_sel:DWORD dst_unused:UNUSED_PAD src0_sel:WORD_0 src1_sel:DWORD
	v_or_b32_sdwa v1, v10, v21 dst_sel:DWORD dst_unused:UNUSED_PAD src0_sel:BYTE_0 src1_sel:DWORD
	v_or_b32_sdwa v27, v11, v22 dst_sel:WORD_1 dst_unused:UNUSED_PAD src0_sel:BYTE_0 src1_sel:DWORD
	s_nop 0
	;; [unrolled: 4-line block ×3, first 2 shown]
	v_or_b32_sdwa v30, v1, v27 dst_sel:DWORD dst_unused:UNUSED_PAD src0_sel:WORD_0 src1_sel:DWORD
	v_or_b32_sdwa v1, v4, v15 dst_sel:DWORD dst_unused:UNUSED_PAD src0_sel:BYTE_0 src1_sel:DWORD
	v_or_b32_sdwa v27, v5, v18 dst_sel:WORD_1 dst_unused:UNUSED_PAD src0_sel:BYTE_0 src1_sel:DWORD
	ds_write2_b64 v14, v[30:31], v[28:29] offset1:1
	v_or_b32_sdwa v29, v1, v27 dst_sel:DWORD dst_unused:UNUSED_PAD src0_sel:WORD_0 src1_sel:DWORD
	v_or_b32_sdwa v1, v2, v6 dst_sel:DWORD dst_unused:UNUSED_PAD src0_sel:BYTE_0 src1_sel:DWORD
	v_or_b32_sdwa v27, v3, v7 dst_sel:WORD_1 dst_unused:UNUSED_PAD src0_sel:BYTE_0 src1_sel:DWORD
	s_nop 0
	v_or_b32_sdwa v28, v1, v27 dst_sel:DWORD dst_unused:UNUSED_PAD src0_sel:WORD_0 src1_sel:DWORD
	ds_write_b64 v14, v[28:29] offset:16
	s_waitcnt lgkmcnt(0)
	s_barrier
	ds_read_u8 v27, v0
	ds_read_u8 v30, v0 offset:256
	ds_read_u8 v31, v0 offset:512
	;; [unrolled: 1-line block ×23, first 2 shown]
	v_mov_b32_e32 v1, 0
	v_lshl_add_u64 v[28:29], s[2:3], 0, v[0:1]
	v_add_co_u32_e32 v28, vcc, 0x1000, v28
	s_waitcnt lgkmcnt(14)
	global_store_byte v0, v27, s[2:3]
	global_store_byte v0, v30, s[2:3] offset:256
	global_store_byte v0, v31, s[2:3] offset:512
	;; [unrolled: 1-line block ×9, first 2 shown]
	s_waitcnt lgkmcnt(13)
	global_store_byte v0, v39, s[2:3] offset:2560
	s_waitcnt lgkmcnt(12)
	global_store_byte v0, v40, s[2:3] offset:2816
	;; [unrolled: 2-line block ×6, first 2 shown]
	v_addc_co_u32_e32 v29, vcc, 0, v29, vcc
	s_waitcnt lgkmcnt(7)
	global_store_byte v[28:29], v45, off
	s_waitcnt lgkmcnt(6)
	global_store_byte v[28:29], v46, off offset:256
	s_waitcnt lgkmcnt(5)
	global_store_byte v[28:29], v47, off offset:512
	;; [unrolled: 2-line block ×7, first 2 shown]
.LBB5_93:
	s_andn2_b64 vcc, exec, s[4:5]
	s_cbranch_vccnz .LBB5_150
; %bb.94:
	v_or_b32_sdwa v1, v17, v25 dst_sel:DWORD dst_unused:UNUSED_PAD src0_sel:BYTE_0 src1_sel:DWORD
	v_or_b32_sdwa v16, v16, v26 dst_sel:WORD_1 dst_unused:UNUSED_PAD src0_sel:BYTE_0 src1_sel:DWORD
	v_cmp_gt_u32_e32 vcc, s20, v0
	v_or_b32_sdwa v17, v1, v16 dst_sel:DWORD dst_unused:UNUSED_PAD src0_sel:WORD_0 src1_sel:DWORD
	v_or_b32_sdwa v1, v12, v23 dst_sel:DWORD dst_unused:UNUSED_PAD src0_sel:BYTE_0 src1_sel:DWORD
	v_or_b32_sdwa v12, v13, v24 dst_sel:WORD_1 dst_unused:UNUSED_PAD src0_sel:BYTE_0 src1_sel:DWORD
	s_nop 0
	v_or_b32_sdwa v16, v1, v12 dst_sel:DWORD dst_unused:UNUSED_PAD src0_sel:WORD_0 src1_sel:DWORD
	v_or_b32_sdwa v1, v10, v21 dst_sel:DWORD dst_unused:UNUSED_PAD src0_sel:BYTE_0 src1_sel:DWORD
	v_or_b32_sdwa v10, v11, v22 dst_sel:WORD_1 dst_unused:UNUSED_PAD src0_sel:BYTE_0 src1_sel:DWORD
	s_nop 0
	;; [unrolled: 4-line block ×3, first 2 shown]
	v_or_b32_sdwa v10, v1, v8 dst_sel:DWORD dst_unused:UNUSED_PAD src0_sel:WORD_0 src1_sel:DWORD
	v_or_b32_sdwa v1, v4, v15 dst_sel:DWORD dst_unused:UNUSED_PAD src0_sel:BYTE_0 src1_sel:DWORD
	v_or_b32_sdwa v4, v5, v18 dst_sel:WORD_1 dst_unused:UNUSED_PAD src0_sel:BYTE_0 src1_sel:DWORD
	ds_write2_b64 v14, v[10:11], v[16:17] offset1:1
	v_or_b32_sdwa v5, v1, v4 dst_sel:DWORD dst_unused:UNUSED_PAD src0_sel:WORD_0 src1_sel:DWORD
	v_or_b32_sdwa v1, v2, v6 dst_sel:DWORD dst_unused:UNUSED_PAD src0_sel:BYTE_0 src1_sel:DWORD
	v_or_b32_sdwa v2, v3, v7 dst_sel:WORD_1 dst_unused:UNUSED_PAD src0_sel:BYTE_0 src1_sel:DWORD
	s_nop 0
	v_or_b32_sdwa v4, v1, v2 dst_sel:DWORD dst_unused:UNUSED_PAD src0_sel:WORD_0 src1_sel:DWORD
	ds_write_b64 v14, v[4:5] offset:16
	s_waitcnt lgkmcnt(0)
	s_barrier
	ds_read_u8 v5, v0
	ds_read_u8 v4, v0 offset:256
	ds_read_u8 v7, v0 offset:512
	;; [unrolled: 1-line block ×23, first 2 shown]
	v_mov_b32_e32 v1, 0
	v_lshl_add_u64 v[2:3], s[2:3], 0, v[0:1]
	s_and_saveexec_b64 s[2:3], vcc
	s_cbranch_execz .LBB5_96
; %bb.95:
	s_waitcnt lgkmcnt(14)
	global_store_byte v[2:3], v5, off
.LBB5_96:
	s_or_b64 exec, exec, s[2:3]
	v_or_b32_e32 v29, 0x100, v0
	v_cmp_gt_u32_e32 vcc, s20, v29
	s_and_saveexec_b64 s[2:3], vcc
	s_cbranch_execz .LBB5_98
; %bb.97:
	s_waitcnt lgkmcnt(14)
	global_store_byte v[2:3], v4, off offset:256
.LBB5_98:
	s_or_b64 exec, exec, s[2:3]
	v_or_b32_e32 v29, 0x200, v0
	v_cmp_gt_u32_e32 vcc, s20, v29
	s_and_saveexec_b64 s[2:3], vcc
	s_cbranch_execz .LBB5_100
; %bb.99:
	s_waitcnt lgkmcnt(14)
	global_store_byte v[2:3], v7, off offset:512
.LBB5_100:
	;; [unrolled: 9-line block ×15, first 2 shown]
	s_or_b64 exec, exec, s[2:3]
	v_or_b32_e32 v29, 0x1000, v0
	v_cmp_gt_u32_e32 vcc, s20, v29
	s_and_saveexec_b64 s[2:3], vcc
	s_cbranch_execz .LBB5_128
; %bb.127:
	v_add_co_u32_e32 v30, vcc, 0x1000, v2
	s_nop 1
	v_addc_co_u32_e32 v31, vcc, 0, v3, vcc
	s_waitcnt lgkmcnt(7)
	global_store_byte v[30:31], v23, off
.LBB5_128:
	s_or_b64 exec, exec, s[2:3]
	v_or_b32_e32 v29, 0x1100, v0
	v_cmp_gt_u32_e32 vcc, s20, v29
	s_and_saveexec_b64 s[2:3], vcc
	s_cbranch_execz .LBB5_130
; %bb.129:
	v_add_co_u32_e32 v30, vcc, 0x1000, v2
	s_nop 1
	v_addc_co_u32_e32 v31, vcc, 0, v3, vcc
	s_waitcnt lgkmcnt(6)
	global_store_byte v[30:31], v26, off offset:256
.LBB5_130:
	s_or_b64 exec, exec, s[2:3]
	v_or_b32_e32 v29, 0x1200, v0
	v_cmp_gt_u32_e32 vcc, s20, v29
	s_and_saveexec_b64 s[2:3], vcc
	s_cbranch_execz .LBB5_132
; %bb.131:
	v_add_co_u32_e32 v30, vcc, 0x1000, v2
	s_nop 1
	v_addc_co_u32_e32 v31, vcc, 0, v3, vcc
	s_waitcnt lgkmcnt(5)
	global_store_byte v[30:31], v25, off offset:512
.LBB5_132:
	;; [unrolled: 12-line block ×7, first 2 shown]
	s_or_b64 exec, exec, s[2:3]
	s_load_dword s0, s[0:1], 0x40
	s_waitcnt lgkmcnt(0)
	s_bfe_u32 s0, s0, 0x10008
	s_cmp_eq_u32 s0, 0
	s_cbranch_scc1 .LBB5_150
; %bb.143:
	s_add_u32 s0, s20, -1
	s_addc_u32 s1, s21, -1
	s_add_u32 s2, 0, 0xaaaa0000
	s_addc_u32 s3, 0, 42
	s_add_i32 s3, s3, 0xaaaaa80
	s_mul_hi_u32 s9, s2, 0xffffffe8
	s_sub_i32 s9, s9, s2
	s_mul_i32 s10, s3, 0xffffffe8
	s_mul_i32 s4, s2, 0xffffffe8
	s_add_i32 s9, s9, s10
	s_mul_hi_u32 s5, s3, s4
	s_mul_i32 s8, s3, s4
	s_mul_i32 s11, s2, s9
	s_mul_hi_u32 s4, s2, s4
	s_mul_hi_u32 s10, s2, s9
	s_add_u32 s4, s4, s11
	s_addc_u32 s10, 0, s10
	s_add_u32 s4, s4, s8
	s_mul_hi_u32 s11, s3, s9
	s_addc_u32 s4, s10, s5
	s_addc_u32 s5, s11, 0
	s_mul_i32 s8, s3, s9
	s_add_u32 s4, s4, s8
	v_mov_b32_e32 v2, s4
	s_addc_u32 s5, 0, s5
	v_add_co_u32_e32 v2, vcc, s2, v2
	s_cmp_lg_u64 vcc, 0
	s_addc_u32 s2, s3, s5
	v_readfirstlane_b32 s5, v2
	s_mul_i32 s4, s0, s2
	s_mul_hi_u32 s8, s0, s5
	s_mul_hi_u32 s3, s0, s2
	s_add_u32 s4, s8, s4
	s_addc_u32 s3, 0, s3
	s_mul_hi_u32 s9, s1, s5
	s_mul_i32 s5, s1, s5
	s_add_u32 s4, s4, s5
	s_mul_hi_u32 s8, s1, s2
	s_addc_u32 s3, s3, s9
	s_addc_u32 s4, s8, 0
	s_mul_i32 s2, s1, s2
	s_add_u32 s2, s3, s2
	s_addc_u32 s3, 0, s4
	s_add_u32 s4, s2, 1
	s_addc_u32 s5, s3, 0
	s_add_u32 s8, s2, 2
	s_mul_i32 s10, s3, 24
	s_mul_hi_u32 s11, s2, 24
	s_addc_u32 s9, s3, 0
	s_add_i32 s11, s11, s10
	s_mul_i32 s10, s2, 24
	v_mov_b32_e32 v2, s10
	v_sub_co_u32_e32 v2, vcc, s0, v2
	s_cmp_lg_u64 vcc, 0
	s_subb_u32 s10, s1, s11
	v_subrev_co_u32_e32 v3, vcc, 24, v2
	s_cmp_lg_u64 vcc, 0
	s_subb_u32 s11, s10, 0
	v_readfirstlane_b32 s12, v3
	s_cmp_gt_u32 s12, 23
	s_cselect_b32 s12, -1, 0
	s_cmp_eq_u32 s11, 0
	s_cselect_b32 s11, s12, -1
	s_cmp_lg_u32 s11, 0
	s_cselect_b32 s4, s8, s4
	v_readfirstlane_b32 s8, v2
	s_cselect_b32 s5, s9, s5
	s_cmp_gt_u32 s8, 23
	s_cselect_b32 s8, -1, 0
	s_cmp_eq_u32 s10, 0
	s_cselect_b32 s8, s8, -1
	s_cmp_lg_u32 s8, 0
	s_cselect_b32 s3, s5, s3
	s_cselect_b32 s2, s4, s2
	v_cmp_eq_u64_e32 vcc, s[2:3], v[0:1]
	s_and_saveexec_b64 s[2:3], vcc
	s_cbranch_execz .LBB5_150
; %bb.144:
	v_mul_hi_u32_u24_e32 v1, 24, v0
	v_mov_b32_e32 v2, s1
	v_sub_co_u32_e32 v0, vcc, s0, v14
	s_mov_b64 s[0:1], 0
	s_nop 0
	v_subb_co_u32_e32 v1, vcc, v2, v1, vcc
	v_cmp_lt_i64_e32 vcc, 11, v[0:1]
	s_mov_b64 s[10:11], 0
	s_mov_b64 s[8:9], 0
	s_mov_b64 s[4:5], 0
	s_and_saveexec_b64 s[2:3], vcc
	s_xor_b64 s[2:3], exec, s[2:3]
	s_cbranch_execnz .LBB5_151
; %bb.145:
	s_andn2_saveexec_b64 s[2:3], s[2:3]
	s_cbranch_execnz .LBB5_196
.LBB5_146:
	s_or_b64 exec, exec, s[2:3]
	s_and_saveexec_b64 s[2:3], s[10:11]
	s_cbranch_execnz .LBB5_213
.LBB5_147:
	s_or_b64 exec, exec, s[2:3]
	s_and_saveexec_b64 s[2:3], s[8:9]
	s_cbranch_execnz .LBB5_214
.LBB5_148:
	s_or_b64 exec, exec, s[2:3]
	s_and_saveexec_b64 s[2:3], s[4:5]
	s_xor_b64 s[2:3], exec, s[2:3]
	s_cbranch_execnz .LBB5_215
.LBB5_149:
	s_or_b64 exec, exec, s[2:3]
	s_and_b64 exec, exec, s[0:1]
	s_cbranch_execnz .LBB5_216
.LBB5_150:
	s_endpgm
.LBB5_151:
	v_cmp_lt_i64_e32 vcc, 17, v[0:1]
	s_and_saveexec_b64 s[12:13], vcc
	s_xor_b64 s[12:13], exec, s[12:13]
	s_cbranch_execz .LBB5_173
; %bb.152:
	v_cmp_lt_i64_e32 vcc, 20, v[0:1]
                                        ; implicit-def: $vgpr10
	s_and_saveexec_b64 s[14:15], vcc
	s_xor_b64 s[14:15], exec, s[14:15]
	s_cbranch_execz .LBB5_162
; %bb.153:
	v_cmp_lt_i64_e32 vcc, 21, v[0:1]
	s_mov_b64 s[16:17], 0
                                        ; implicit-def: $vgpr10
	s_and_saveexec_b64 s[4:5], vcc
	s_xor_b64 s[4:5], exec, s[4:5]
	s_cbranch_execz .LBB5_159
; %bb.154:
	v_cmp_lt_i64_e32 vcc, 22, v[0:1]
	s_and_saveexec_b64 s[16:17], vcc
	s_xor_b64 s[16:17], exec, s[16:17]
	s_cbranch_execz .LBB5_156
; %bb.155:
	v_mov_b32_e32 v2, 0
	global_store_byte v2, v28, s[6:7]
                                        ; implicit-def: $vgpr27
.LBB5_156:
	s_or_saveexec_b64 s[16:17], s[16:17]
	s_mov_b64 s[18:19], 0
	s_xor_b64 exec, exec, s[16:17]
; %bb.157:
	s_mov_b64 s[18:19], exec
; %bb.158:
	s_or_b64 exec, exec, s[16:17]
	s_and_b64 s[16:17], s[18:19], exec
	v_mov_b32_e32 v10, v27
                                        ; implicit-def: $vgpr11
.LBB5_159:
	s_andn2_saveexec_b64 s[4:5], s[4:5]
; %bb.160:
	s_mov_b64 s[8:9], exec
                                        ; implicit-def: $vgpr10
; %bb.161:
	s_or_b64 exec, exec, s[4:5]
	s_and_b64 s[4:5], s[16:17], exec
	s_and_b64 s[8:9], s[8:9], exec
                                        ; implicit-def: $vgpr25
                                        ; implicit-def: $vgpr12
                                        ; implicit-def: $vgpr22
.LBB5_162:
	s_andn2_saveexec_b64 s[14:15], s[14:15]
	s_cbranch_execz .LBB5_172
; %bb.163:
	v_cmp_lt_i64_e32 vcc, 18, v[0:1]
	s_mov_b64 s[16:17], 0
	s_and_saveexec_b64 s[10:11], vcc
	s_xor_b64 s[10:11], exec, s[10:11]
	s_cbranch_execz .LBB5_169
; %bb.164:
	v_cmp_lt_i64_e32 vcc, 19, v[0:1]
	s_and_saveexec_b64 s[18:19], vcc
	s_xor_b64 s[18:19], exec, s[18:19]
; %bb.165:
	s_mov_b64 s[16:17], exec
                                        ; implicit-def: $vgpr22
; %bb.166:
	s_andn2_saveexec_b64 s[18:19], s[18:19]
	s_cbranch_execz .LBB5_168
; %bb.167:
	v_mov_b32_e32 v2, 0
	global_store_byte v2, v22, s[6:7]
                                        ; implicit-def: $vgpr12
.LBB5_168:
	s_or_b64 exec, exec, s[18:19]
	s_and_b64 s[16:17], s[16:17], exec
                                        ; implicit-def: $vgpr25
.LBB5_169:
	s_andn2_saveexec_b64 s[10:11], s[10:11]
	s_cbranch_execz .LBB5_171
; %bb.170:
	v_mov_b32_e32 v2, 0
	global_store_byte v2, v25, s[6:7]
                                        ; implicit-def: $vgpr12
.LBB5_171:
	s_or_b64 exec, exec, s[10:11]
	s_and_b64 s[10:11], s[16:17], exec
                                        ; implicit-def: $vgpr10
                                        ; implicit-def: $vgpr11
.LBB5_172:
	s_or_b64 exec, exec, s[14:15]
	s_and_b64 s[4:5], s[4:5], exec
	s_and_b64 s[8:9], s[8:9], exec
	;; [unrolled: 1-line block ×3, first 2 shown]
                                        ; implicit-def: $vgpr19
                                        ; implicit-def: $vgpr13
                                        ; implicit-def: $vgpr15
                                        ; implicit-def: $vgpr23
                                        ; implicit-def: $vgpr26
.LBB5_173:
	s_andn2_saveexec_b64 s[12:13], s[12:13]
	s_cbranch_execz .LBB5_195
; %bb.174:
	v_cmp_lt_i64_e32 vcc, 14, v[0:1]
	s_mov_b64 s[14:15], s[4:5]
	s_and_saveexec_b64 s[16:17], vcc
	s_xor_b64 s[16:17], exec, s[16:17]
	s_cbranch_execz .LBB5_184
; %bb.175:
	v_cmp_lt_i64_e32 vcc, 15, v[0:1]
	s_and_saveexec_b64 s[14:15], vcc
	s_xor_b64 s[14:15], exec, s[14:15]
	s_cbranch_execz .LBB5_181
; %bb.176:
	v_cmp_lt_i64_e32 vcc, 16, v[0:1]
	s_and_saveexec_b64 s[18:19], vcc
	s_xor_b64 s[18:19], exec, s[18:19]
	s_cbranch_execz .LBB5_178
; %bb.177:
	v_mov_b32_e32 v2, 0
	global_store_byte v2, v26, s[6:7]
                                        ; implicit-def: $vgpr23
.LBB5_178:
	s_andn2_saveexec_b64 s[18:19], s[18:19]
	s_cbranch_execz .LBB5_180
; %bb.179:
	v_mov_b32_e32 v2, 0
	global_store_byte v2, v23, s[6:7]
.LBB5_180:
	s_or_b64 exec, exec, s[18:19]
                                        ; implicit-def: $vgpr10
.LBB5_181:
	s_or_saveexec_b64 s[14:15], s[14:15]
	s_mov_b64 s[18:19], s[4:5]
	s_xor_b64 exec, exec, s[14:15]
; %bb.182:
	s_or_b64 s[18:19], s[4:5], exec
; %bb.183:
	s_or_b64 exec, exec, s[14:15]
	s_andn2_b64 s[14:15], s[4:5], exec
	s_and_b64 s[18:19], s[18:19], exec
	s_or_b64 s[14:15], s[14:15], s[18:19]
                                        ; implicit-def: $vgpr19
                                        ; implicit-def: $vgpr13
                                        ; implicit-def: $vgpr15
.LBB5_184:
	s_or_saveexec_b64 s[16:17], s[16:17]
	s_mov_b64 s[18:19], s[8:9]
                                        ; implicit-def: $vgpr11
	s_xor_b64 exec, exec, s[16:17]
	s_cbranch_execz .LBB5_194
; %bb.185:
	v_cmp_lt_i64_e32 vcc, 12, v[0:1]
	s_mov_b64 s[20:21], s[8:9]
	s_mov_b64 s[22:23], s[14:15]
                                        ; implicit-def: $vgpr10
                                        ; implicit-def: $vgpr11
	s_and_saveexec_b64 s[18:19], vcc
	s_xor_b64 s[18:19], exec, s[18:19]
	s_cbranch_execz .LBB5_191
; %bb.186:
	v_cmp_lt_i64_e32 vcc, 13, v[0:1]
	s_mov_b64 s[20:21], s[14:15]
	s_and_saveexec_b64 s[22:23], vcc
	s_xor_b64 s[22:23], exec, s[22:23]
; %bb.187:
	s_or_b64 s[20:21], s[14:15], exec
                                        ; implicit-def: $vgpr13
; %bb.188:
	s_or_saveexec_b64 s[22:23], s[22:23]
	s_mov_b64 s[24:25], s[8:9]
	s_xor_b64 exec, exec, s[22:23]
; %bb.189:
	s_or_b64 s[24:25], s[8:9], exec
                                        ; implicit-def: $vgpr15
; %bb.190:
	s_or_b64 exec, exec, s[22:23]
	s_andn2_b64 s[22:23], s[14:15], exec
	s_and_b64 s[20:21], s[20:21], exec
	s_or_b64 s[22:23], s[22:23], s[20:21]
	s_andn2_b64 s[20:21], s[8:9], exec
	s_and_b64 s[24:25], s[24:25], exec
	s_or_b64 s[20:21], s[20:21], s[24:25]
	v_mov_b32_e32 v10, v15
	v_mov_b32_e32 v11, v13
                                        ; implicit-def: $vgpr19
.LBB5_191:
	s_andn2_saveexec_b64 s[18:19], s[18:19]
; %bb.192:
	s_or_b64 s[20:21], s[20:21], exec
                                        ; implicit-def: $vgpr10
	v_mov_b32_e32 v11, v19
; %bb.193:
	s_or_b64 exec, exec, s[18:19]
	s_andn2_b64 s[14:15], s[14:15], exec
	s_and_b64 s[18:19], s[22:23], exec
	s_or_b64 s[14:15], s[14:15], s[18:19]
	s_andn2_b64 s[18:19], s[8:9], exec
	s_and_b64 s[20:21], s[20:21], exec
	s_or_b64 s[18:19], s[18:19], s[20:21]
.LBB5_194:
	s_or_b64 exec, exec, s[16:17]
	s_andn2_b64 s[4:5], s[4:5], exec
	s_and_b64 s[14:15], s[14:15], exec
	s_or_b64 s[4:5], s[4:5], s[14:15]
	s_andn2_b64 s[8:9], s[8:9], exec
	s_and_b64 s[14:15], s[18:19], exec
	s_or_b64 s[8:9], s[8:9], s[14:15]
                                        ; implicit-def: $vgpr12
.LBB5_195:
	s_or_b64 exec, exec, s[12:13]
	s_and_b64 s[4:5], s[4:5], exec
	s_and_b64 s[8:9], s[8:9], exec
	;; [unrolled: 1-line block ×3, first 2 shown]
                                        ; implicit-def: $vgpr18
                                        ; implicit-def: $vgpr16
                                        ; implicit-def: $vgpr17
                                        ; implicit-def: $vgpr24
                                        ; implicit-def: $vgpr21
                                        ; implicit-def: $vgpr20
	s_andn2_saveexec_b64 s[2:3], s[2:3]
	s_cbranch_execz .LBB5_146
.LBB5_196:
	v_cmp_lt_i64_e32 vcc, 5, v[0:1]
	s_mov_b64 s[14:15], -1
	s_mov_b64 s[12:13], s[10:11]
	s_mov_b64 s[16:17], s[8:9]
	;; [unrolled: 1-line block ×3, first 2 shown]
                                        ; implicit-def: $vgpr10
                                        ; implicit-def: $vgpr11
                                        ; implicit-def: $vgpr12
	s_and_saveexec_b64 s[0:1], vcc
	s_cbranch_execz .LBB5_212
; %bb.197:
	v_cmp_lt_i64_e32 vcc, 8, v[0:1]
	s_mov_b64 s[12:13], s[10:11]
                                        ; implicit-def: $vgpr12
	s_and_saveexec_b64 s[14:15], vcc
	s_xor_b64 s[14:15], exec, s[14:15]
	s_cbranch_execz .LBB5_207
; %bb.198:
	v_cmp_lt_i64_e32 vcc, 9, v[0:1]
	s_and_saveexec_b64 s[12:13], vcc
	s_xor_b64 s[12:13], exec, s[12:13]
	s_cbranch_execz .LBB5_204
; %bb.199:
	v_cmp_lt_i64_e32 vcc, 10, v[0:1]
	s_and_saveexec_b64 s[16:17], vcc
	s_xor_b64 s[16:17], exec, s[16:17]
; %bb.200:
                                        ; implicit-def: $vgpr21
; %bb.201:
	s_andn2_saveexec_b64 s[16:17], s[16:17]
; %bb.202:
	v_mov_b32_e32 v20, v21
; %bb.203:
	s_or_b64 exec, exec, s[16:17]
                                        ; implicit-def: $vgpr24
.LBB5_204:
	s_andn2_saveexec_b64 s[12:13], s[12:13]
; %bb.205:
	v_mov_b32_e32 v20, v24
; %bb.206:
	s_or_b64 exec, exec, s[12:13]
	s_or_b64 s[12:13], s[10:11], exec
	v_mov_b32_e32 v12, v20
                                        ; implicit-def: $vgpr18
                                        ; implicit-def: $vgpr16
                                        ; implicit-def: $vgpr17
.LBB5_207:
	s_or_saveexec_b64 s[14:15], s[14:15]
	s_mov_b64 s[16:17], s[8:9]
	s_mov_b64 s[20:21], s[4:5]
                                        ; implicit-def: $vgpr10
                                        ; implicit-def: $vgpr11
	s_xor_b64 exec, exec, s[14:15]
	s_cbranch_execz .LBB5_211
; %bb.208:
	v_cmp_lt_i64_e32 vcc, 6, v[0:1]
	s_mov_b64 s[20:21], -1
	s_mov_b64 s[18:19], s[12:13]
	s_mov_b64 s[16:17], s[8:9]
	s_and_saveexec_b64 s[22:23], vcc
; %bb.209:
	v_cmp_lt_i64_e32 vcc, 7, v[0:1]
	s_andn2_b64 s[18:19], s[12:13], exec
	s_and_b64 s[24:25], vcc, exec
	s_xor_b64 s[20:21], exec, -1
	s_or_b64 s[16:17], s[8:9], exec
	s_or_b64 s[18:19], s[18:19], s[24:25]
                                        ; implicit-def: $vgpr18
; %bb.210:
	s_or_b64 exec, exec, s[22:23]
	s_andn2_b64 s[22:23], s[4:5], exec
	s_and_b64 s[20:21], s[20:21], exec
	s_or_b64 s[20:21], s[22:23], s[20:21]
	s_andn2_b64 s[22:23], s[8:9], exec
	s_and_b64 s[16:17], s[16:17], exec
	s_andn2_b64 s[12:13], s[12:13], exec
	s_and_b64 s[18:19], s[18:19], exec
	s_or_b64 s[16:17], s[22:23], s[16:17]
	s_or_b64 s[12:13], s[12:13], s[18:19]
	v_mov_b32_e32 v10, v18
	v_mov_b32_e32 v11, v16
	v_mov_b32_e32 v12, v17
.LBB5_211:
	s_or_b64 exec, exec, s[14:15]
	s_andn2_b64 s[18:19], s[4:5], exec
	s_and_b64 s[20:21], s[20:21], exec
	s_or_b64 s[18:19], s[18:19], s[20:21]
	s_andn2_b64 s[20:21], s[8:9], exec
	s_and_b64 s[16:17], s[16:17], exec
	s_or_b64 s[16:17], s[20:21], s[16:17]
	s_andn2_b64 s[20:21], s[10:11], exec
	s_and_b64 s[12:13], s[12:13], exec
	s_xor_b64 s[14:15], exec, -1
	s_or_b64 s[12:13], s[20:21], s[12:13]
.LBB5_212:
	s_or_b64 exec, exec, s[0:1]
	s_and_b64 s[0:1], s[14:15], exec
	s_andn2_b64 s[4:5], s[4:5], exec
	s_and_b64 s[14:15], s[18:19], exec
	s_or_b64 s[4:5], s[4:5], s[14:15]
	s_andn2_b64 s[8:9], s[8:9], exec
	s_and_b64 s[14:15], s[16:17], exec
	s_andn2_b64 s[10:11], s[10:11], exec
	s_and_b64 s[12:13], s[12:13], exec
	s_or_b64 s[8:9], s[8:9], s[14:15]
	s_or_b64 s[10:11], s[10:11], s[12:13]
	s_or_b64 exec, exec, s[2:3]
	s_and_saveexec_b64 s[2:3], s[10:11]
	s_cbranch_execz .LBB5_147
.LBB5_213:
	v_mov_b32_e32 v2, 0
	s_andn2_b64 s[8:9], s[8:9], exec
	global_store_byte v2, v12, s[6:7]
                                        ; implicit-def: $vgpr10
                                        ; implicit-def: $vgpr11
	s_or_b64 exec, exec, s[2:3]
	s_and_saveexec_b64 s[2:3], s[8:9]
	s_cbranch_execz .LBB5_148
.LBB5_214:
	v_mov_b32_e32 v2, 0
	global_store_byte v2, v11, s[6:7]
                                        ; implicit-def: $vgpr10
	s_or_b64 exec, exec, s[2:3]
	s_and_saveexec_b64 s[2:3], s[4:5]
	s_xor_b64 s[2:3], exec, s[2:3]
	s_cbranch_execz .LBB5_149
.LBB5_215:
	v_mov_b32_e32 v2, 0
	global_store_byte v2, v10, s[6:7]
	s_or_b64 exec, exec, s[2:3]
	s_and_b64 exec, exec, s[0:1]
	s_cbranch_execz .LBB5_150
.LBB5_216:
	v_cmp_lt_i64_e32 vcc, 2, v[0:1]
	s_and_saveexec_b64 s[0:1], vcc
	s_xor_b64 s[0:1], exec, s[0:1]
	s_cbranch_execz .LBB5_226
; %bb.217:
	v_cmp_lt_i64_e32 vcc, 3, v[0:1]
	s_and_saveexec_b64 s[2:3], vcc
	s_xor_b64 s[2:3], exec, s[2:3]
	s_cbranch_execz .LBB5_223
; %bb.218:
	;; [unrolled: 5-line block ×3, first 2 shown]
	v_mov_b32_e32 v0, 0
	global_store_byte v0, v9, s[6:7]
                                        ; implicit-def: $vgpr6
.LBB5_220:
	s_andn2_saveexec_b64 s[4:5], s[4:5]
	s_cbranch_execz .LBB5_222
; %bb.221:
	v_mov_b32_e32 v0, 0
	global_store_byte v0, v6, s[6:7]
.LBB5_222:
	s_or_b64 exec, exec, s[4:5]
                                        ; implicit-def: $vgpr8
.LBB5_223:
	s_andn2_saveexec_b64 s[2:3], s[2:3]
	s_cbranch_execz .LBB5_225
; %bb.224:
	v_mov_b32_e32 v0, 0
	global_store_byte v0, v8, s[6:7]
.LBB5_225:
	s_or_b64 exec, exec, s[2:3]
                                        ; implicit-def: $vgpr0_vgpr1
                                        ; implicit-def: $vgpr7
                                        ; implicit-def: $vgpr4
                                        ; implicit-def: $vgpr5
.LBB5_226:
	s_andn2_saveexec_b64 s[0:1], s[0:1]
	s_cbranch_execz .LBB5_150
; %bb.227:
	v_cmp_lt_i64_e32 vcc, 1, v[0:1]
	s_and_saveexec_b64 s[0:1], vcc
	s_xor_b64 s[0:1], exec, s[0:1]
	s_cbranch_execz .LBB5_229
; %bb.228:
	v_mov_b32_e32 v0, 0
	global_store_byte v0, v7, s[6:7]
                                        ; implicit-def: $vgpr4
                                        ; implicit-def: $vgpr0_vgpr1
                                        ; implicit-def: $vgpr5
.LBB5_229:
	s_andn2_saveexec_b64 s[0:1], s[0:1]
	s_cbranch_execz .LBB5_150
; %bb.230:
	v_cmp_ne_u64_e32 vcc, 1, v[0:1]
	s_and_saveexec_b64 s[0:1], vcc
	s_xor_b64 s[0:1], exec, s[0:1]
	s_cbranch_execz .LBB5_232
; %bb.231:
	v_mov_b32_e32 v0, 0
	global_store_byte v0, v5, s[6:7]
                                        ; implicit-def: $vgpr4
.LBB5_232:
	s_andn2_saveexec_b64 s[0:1], s[0:1]
	s_cbranch_execz .LBB5_150
; %bb.233:
	v_mov_b32_e32 v0, 0
	global_store_byte v0, v4, s[6:7]
	s_endpgm
	.section	.rodata,"a",@progbits
	.p2align	6, 0x0
	.amdhsa_kernel _ZN7rocprim17ROCPRIM_304000_NS6detail20lookback_scan_kernelILNS1_25lookback_scan_determinismE0ELb0ENS1_19wrapped_scan_configINS0_14default_configEhEEPKhPhSt4plusIhEhhNS1_19lookback_scan_stateIhLb0ELb1EEEEEvT2_T3_mT5_T4_T7_jPT6_SK_bb
		.amdhsa_group_segment_fixed_size 6144
		.amdhsa_private_segment_fixed_size 0
		.amdhsa_kernarg_size 68
		.amdhsa_user_sgpr_count 2
		.amdhsa_user_sgpr_dispatch_ptr 0
		.amdhsa_user_sgpr_queue_ptr 0
		.amdhsa_user_sgpr_kernarg_segment_ptr 1
		.amdhsa_user_sgpr_dispatch_id 0
		.amdhsa_user_sgpr_kernarg_preload_length 0
		.amdhsa_user_sgpr_kernarg_preload_offset 0
		.amdhsa_user_sgpr_private_segment_size 0
		.amdhsa_uses_dynamic_stack 0
		.amdhsa_enable_private_segment 0
		.amdhsa_system_sgpr_workgroup_id_x 1
		.amdhsa_system_sgpr_workgroup_id_y 0
		.amdhsa_system_sgpr_workgroup_id_z 0
		.amdhsa_system_sgpr_workgroup_info 0
		.amdhsa_system_vgpr_workitem_id 0
		.amdhsa_next_free_vgpr 53
		.amdhsa_next_free_sgpr 26
		.amdhsa_accum_offset 56
		.amdhsa_reserve_vcc 1
		.amdhsa_float_round_mode_32 0
		.amdhsa_float_round_mode_16_64 0
		.amdhsa_float_denorm_mode_32 3
		.amdhsa_float_denorm_mode_16_64 3
		.amdhsa_dx10_clamp 1
		.amdhsa_ieee_mode 1
		.amdhsa_fp16_overflow 0
		.amdhsa_tg_split 0
		.amdhsa_exception_fp_ieee_invalid_op 0
		.amdhsa_exception_fp_denorm_src 0
		.amdhsa_exception_fp_ieee_div_zero 0
		.amdhsa_exception_fp_ieee_overflow 0
		.amdhsa_exception_fp_ieee_underflow 0
		.amdhsa_exception_fp_ieee_inexact 0
		.amdhsa_exception_int_div_zero 0
	.end_amdhsa_kernel
	.section	.text._ZN7rocprim17ROCPRIM_304000_NS6detail20lookback_scan_kernelILNS1_25lookback_scan_determinismE0ELb0ENS1_19wrapped_scan_configINS0_14default_configEhEEPKhPhSt4plusIhEhhNS1_19lookback_scan_stateIhLb0ELb1EEEEEvT2_T3_mT5_T4_T7_jPT6_SK_bb,"axG",@progbits,_ZN7rocprim17ROCPRIM_304000_NS6detail20lookback_scan_kernelILNS1_25lookback_scan_determinismE0ELb0ENS1_19wrapped_scan_configINS0_14default_configEhEEPKhPhSt4plusIhEhhNS1_19lookback_scan_stateIhLb0ELb1EEEEEvT2_T3_mT5_T4_T7_jPT6_SK_bb,comdat
.Lfunc_end5:
	.size	_ZN7rocprim17ROCPRIM_304000_NS6detail20lookback_scan_kernelILNS1_25lookback_scan_determinismE0ELb0ENS1_19wrapped_scan_configINS0_14default_configEhEEPKhPhSt4plusIhEhhNS1_19lookback_scan_stateIhLb0ELb1EEEEEvT2_T3_mT5_T4_T7_jPT6_SK_bb, .Lfunc_end5-_ZN7rocprim17ROCPRIM_304000_NS6detail20lookback_scan_kernelILNS1_25lookback_scan_determinismE0ELb0ENS1_19wrapped_scan_configINS0_14default_configEhEEPKhPhSt4plusIhEhhNS1_19lookback_scan_stateIhLb0ELb1EEEEEvT2_T3_mT5_T4_T7_jPT6_SK_bb
                                        ; -- End function
	.section	.AMDGPU.csdata,"",@progbits
; Kernel info:
; codeLenInByte = 8492
; NumSgprs: 32
; NumVgprs: 53
; NumAgprs: 0
; TotalNumVgprs: 53
; ScratchSize: 0
; MemoryBound: 0
; FloatMode: 240
; IeeeMode: 1
; LDSByteSize: 6144 bytes/workgroup (compile time only)
; SGPRBlocks: 3
; VGPRBlocks: 6
; NumSGPRsForWavesPerEU: 32
; NumVGPRsForWavesPerEU: 53
; AccumOffset: 56
; Occupancy: 8
; WaveLimiterHint : 1
; COMPUTE_PGM_RSRC2:SCRATCH_EN: 0
; COMPUTE_PGM_RSRC2:USER_SGPR: 2
; COMPUTE_PGM_RSRC2:TRAP_HANDLER: 0
; COMPUTE_PGM_RSRC2:TGID_X_EN: 1
; COMPUTE_PGM_RSRC2:TGID_Y_EN: 0
; COMPUTE_PGM_RSRC2:TGID_Z_EN: 0
; COMPUTE_PGM_RSRC2:TIDIG_COMP_CNT: 0
; COMPUTE_PGM_RSRC3_GFX90A:ACCUM_OFFSET: 13
; COMPUTE_PGM_RSRC3_GFX90A:TG_SPLIT: 0
	.section	.text._ZN7rocprim17ROCPRIM_304000_NS6detail16transform_kernelINS1_24wrapped_transform_configINS0_14default_configEhEEhPhS6_NS0_8identityIhEEEEvT1_mT2_T3_,"axG",@progbits,_ZN7rocprim17ROCPRIM_304000_NS6detail16transform_kernelINS1_24wrapped_transform_configINS0_14default_configEhEEhPhS6_NS0_8identityIhEEEEvT1_mT2_T3_,comdat
	.protected	_ZN7rocprim17ROCPRIM_304000_NS6detail16transform_kernelINS1_24wrapped_transform_configINS0_14default_configEhEEhPhS6_NS0_8identityIhEEEEvT1_mT2_T3_ ; -- Begin function _ZN7rocprim17ROCPRIM_304000_NS6detail16transform_kernelINS1_24wrapped_transform_configINS0_14default_configEhEEhPhS6_NS0_8identityIhEEEEvT1_mT2_T3_
	.globl	_ZN7rocprim17ROCPRIM_304000_NS6detail16transform_kernelINS1_24wrapped_transform_configINS0_14default_configEhEEhPhS6_NS0_8identityIhEEEEvT1_mT2_T3_
	.p2align	8
	.type	_ZN7rocprim17ROCPRIM_304000_NS6detail16transform_kernelINS1_24wrapped_transform_configINS0_14default_configEhEEhPhS6_NS0_8identityIhEEEEvT1_mT2_T3_,@function
_ZN7rocprim17ROCPRIM_304000_NS6detail16transform_kernelINS1_24wrapped_transform_configINS0_14default_configEhEEhPhS6_NS0_8identityIhEEEEvT1_mT2_T3_: ; @_ZN7rocprim17ROCPRIM_304000_NS6detail16transform_kernelINS1_24wrapped_transform_configINS0_14default_configEhEEhPhS6_NS0_8identityIhEEEEvT1_mT2_T3_
; %bb.0:
	s_load_dword s3, s[0:1], 0x20
	s_load_dwordx4 s[4:7], s[0:1], 0x0
	s_load_dwordx2 s[30:31], s[0:1], 0x10
	s_lshl_b32 s33, s2, 12
	v_mov_b32_e32 v1, 0
	s_waitcnt lgkmcnt(0)
	s_add_i32 s3, s3, -1
	s_add_u32 s0, s4, s33
	s_addc_u32 s1, s5, 0
	s_cmp_lg_u32 s2, s3
	v_lshl_add_u64 v[2:3], s[0:1], 0, v[0:1]
	s_cbranch_scc0 .LBB6_2
; %bb.1:
	global_load_ubyte v4, v[2:3], off
	global_load_ubyte v8, v[2:3], off offset:256
	global_load_ubyte v9, v[2:3], off offset:512
	;; [unrolled: 1-line block ×15, first 2 shown]
	s_add_u32 s2, s30, s33
	s_addc_u32 s3, s31, 0
	v_lshl_add_u64 v[6:7], s[2:3], 0, v[0:1]
	s_mov_b64 s[34:35], -1
	s_waitcnt vmcnt(15)
	global_store_byte v[6:7], v4, off
	s_waitcnt vmcnt(15)
	global_store_byte v[6:7], v8, off offset:256
	s_waitcnt vmcnt(15)
	global_store_byte v[6:7], v9, off offset:512
	;; [unrolled: 2-line block ×14, first 2 shown]
	s_cbranch_execz .LBB6_3
	s_branch .LBB6_68
.LBB6_2:
	s_mov_b64 s[34:35], 0
                                        ; implicit-def: $vgpr5
.LBB6_3:
	s_sub_i32 s36, s6, s33
	v_cmp_gt_u32_e32 vcc, s36, v0
                                        ; implicit-def: $vgpr4
	s_and_saveexec_b64 s[0:1], vcc
	s_cbranch_execz .LBB6_5
; %bb.4:
	global_load_ubyte v4, v[2:3], off
.LBB6_5:
	s_or_b64 exec, exec, s[0:1]
	s_waitcnt vmcnt(15)
	v_or_b32_e32 v5, 0x100, v0
	v_cmp_gt_u32_e64 s[0:1], s36, v5
                                        ; implicit-def: $vgpr5
	s_and_saveexec_b64 s[2:3], s[0:1]
	s_cbranch_execz .LBB6_7
; %bb.6:
	global_load_ubyte v5, v[2:3], off offset:256
.LBB6_7:
	s_or_b64 exec, exec, s[2:3]
	v_or_b32_e32 v6, 0x200, v0
	v_cmp_gt_u32_e64 s[2:3], s36, v6
                                        ; implicit-def: $vgpr6
	s_and_saveexec_b64 s[4:5], s[2:3]
	s_cbranch_execz .LBB6_9
; %bb.8:
	global_load_ubyte v6, v[2:3], off offset:512
.LBB6_9:
	s_or_b64 exec, exec, s[4:5]
	v_or_b32_e32 v7, 0x300, v0
	v_cmp_gt_u32_e64 s[4:5], s36, v7
                                        ; implicit-def: $vgpr7
	s_and_saveexec_b64 s[6:7], s[4:5]
	s_cbranch_execz .LBB6_11
; %bb.10:
	global_load_ubyte v7, v[2:3], off offset:768
.LBB6_11:
	s_or_b64 exec, exec, s[6:7]
	v_or_b32_e32 v8, 0x400, v0
	v_cmp_gt_u32_e64 s[6:7], s36, v8
                                        ; implicit-def: $vgpr8
	s_and_saveexec_b64 s[8:9], s[6:7]
	s_cbranch_execz .LBB6_13
; %bb.12:
	global_load_ubyte v8, v[2:3], off offset:1024
.LBB6_13:
	s_or_b64 exec, exec, s[8:9]
	v_or_b32_e32 v9, 0x500, v0
	v_cmp_gt_u32_e64 s[8:9], s36, v9
                                        ; implicit-def: $vgpr9
	s_and_saveexec_b64 s[10:11], s[8:9]
	s_cbranch_execz .LBB6_15
; %bb.14:
	global_load_ubyte v9, v[2:3], off offset:1280
.LBB6_15:
	s_or_b64 exec, exec, s[10:11]
	v_or_b32_e32 v10, 0x600, v0
	v_cmp_gt_u32_e64 s[10:11], s36, v10
                                        ; implicit-def: $vgpr10
	s_and_saveexec_b64 s[12:13], s[10:11]
	s_cbranch_execz .LBB6_17
; %bb.16:
	global_load_ubyte v10, v[2:3], off offset:1536
.LBB6_17:
	s_or_b64 exec, exec, s[12:13]
	v_or_b32_e32 v11, 0x700, v0
	v_cmp_gt_u32_e64 s[12:13], s36, v11
                                        ; implicit-def: $vgpr11
	s_and_saveexec_b64 s[14:15], s[12:13]
	s_cbranch_execz .LBB6_19
; %bb.18:
	global_load_ubyte v11, v[2:3], off offset:1792
.LBB6_19:
	s_or_b64 exec, exec, s[14:15]
	v_or_b32_e32 v12, 0x800, v0
	v_cmp_gt_u32_e64 s[14:15], s36, v12
                                        ; implicit-def: $vgpr12
	s_and_saveexec_b64 s[16:17], s[14:15]
	s_cbranch_execz .LBB6_21
; %bb.20:
	global_load_ubyte v12, v[2:3], off offset:2048
.LBB6_21:
	s_or_b64 exec, exec, s[16:17]
	v_or_b32_e32 v13, 0x900, v0
	v_cmp_gt_u32_e64 s[16:17], s36, v13
                                        ; implicit-def: $vgpr13
	s_and_saveexec_b64 s[18:19], s[16:17]
	s_cbranch_execz .LBB6_23
; %bb.22:
	global_load_ubyte v13, v[2:3], off offset:2304
.LBB6_23:
	s_or_b64 exec, exec, s[18:19]
	v_or_b32_e32 v14, 0xa00, v0
	v_cmp_gt_u32_e64 s[18:19], s36, v14
                                        ; implicit-def: $vgpr14
	s_and_saveexec_b64 s[20:21], s[18:19]
	s_cbranch_execz .LBB6_25
; %bb.24:
	global_load_ubyte v14, v[2:3], off offset:2560
.LBB6_25:
	s_or_b64 exec, exec, s[20:21]
	v_or_b32_e32 v15, 0xb00, v0
	v_cmp_gt_u32_e64 s[20:21], s36, v15
                                        ; implicit-def: $vgpr15
	s_and_saveexec_b64 s[22:23], s[20:21]
	s_cbranch_execz .LBB6_27
; %bb.26:
	global_load_ubyte v15, v[2:3], off offset:2816
.LBB6_27:
	s_or_b64 exec, exec, s[22:23]
	v_or_b32_e32 v16, 0xc00, v0
	v_cmp_gt_u32_e64 s[22:23], s36, v16
                                        ; implicit-def: $vgpr16
	s_and_saveexec_b64 s[24:25], s[22:23]
	s_cbranch_execz .LBB6_29
; %bb.28:
	global_load_ubyte v16, v[2:3], off offset:3072
.LBB6_29:
	s_or_b64 exec, exec, s[24:25]
	v_or_b32_e32 v17, 0xd00, v0
	v_cmp_gt_u32_e64 s[24:25], s36, v17
                                        ; implicit-def: $vgpr17
	s_and_saveexec_b64 s[26:27], s[24:25]
	s_cbranch_execz .LBB6_31
; %bb.30:
	global_load_ubyte v17, v[2:3], off offset:3328
.LBB6_31:
	s_or_b64 exec, exec, s[26:27]
	v_or_b32_e32 v18, 0xe00, v0
	v_cmp_gt_u32_e64 s[26:27], s36, v18
                                        ; implicit-def: $vgpr18
	s_and_saveexec_b64 s[28:29], s[26:27]
	s_cbranch_execz .LBB6_33
; %bb.32:
	global_load_ubyte v18, v[2:3], off offset:3584
.LBB6_33:
	s_or_b64 exec, exec, s[28:29]
	v_or_b32_e32 v19, 0xf00, v0
	v_cmp_gt_u32_e64 s[28:29], s36, v19
                                        ; implicit-def: $vgpr19
	s_and_saveexec_b64 s[36:37], s[28:29]
	s_cbranch_execz .LBB6_35
; %bb.34:
	global_load_ubyte v19, v[2:3], off offset:3840
.LBB6_35:
	s_or_b64 exec, exec, s[36:37]
	s_waitcnt vmcnt(0)
	v_lshlrev_b16_e32 v2, 8, v5
	v_lshlrev_b16_e32 v3, 8, v7
	v_or_b32_sdwa v2, v4, v2 dst_sel:DWORD dst_unused:UNUSED_PAD src0_sel:BYTE_0 src1_sel:DWORD
	v_or_b32_sdwa v3, v6, v3 dst_sel:WORD_1 dst_unused:UNUSED_PAD src0_sel:BYTE_0 src1_sel:DWORD
	s_add_u32 s36, s30, s33
	v_or_b32_sdwa v7, v2, v3 dst_sel:DWORD dst_unused:UNUSED_PAD src0_sel:WORD_0 src1_sel:DWORD
	v_lshlrev_b16_e32 v2, 8, v9
	v_lshlrev_b16_e32 v3, 8, v11
	v_or_b32_sdwa v2, v8, v2 dst_sel:DWORD dst_unused:UNUSED_PAD src0_sel:BYTE_0 src1_sel:DWORD
	v_or_b32_sdwa v3, v10, v3 dst_sel:WORD_1 dst_unused:UNUSED_PAD src0_sel:BYTE_0 src1_sel:DWORD
	s_addc_u32 s37, s31, 0
	v_or_b32_sdwa v6, v2, v3 dst_sel:DWORD dst_unused:UNUSED_PAD src0_sel:WORD_0 src1_sel:DWORD
	v_lshlrev_b16_e32 v2, 8, v13
	v_lshlrev_b16_e32 v3, 8, v15
	v_or_b32_sdwa v2, v12, v2 dst_sel:DWORD dst_unused:UNUSED_PAD src0_sel:BYTE_0 src1_sel:DWORD
	v_or_b32_sdwa v3, v14, v3 dst_sel:WORD_1 dst_unused:UNUSED_PAD src0_sel:BYTE_0 src1_sel:DWORD
	s_nop 0
	v_or_b32_sdwa v5, v2, v3 dst_sel:DWORD dst_unused:UNUSED_PAD src0_sel:WORD_0 src1_sel:DWORD
	v_lshlrev_b16_e32 v2, 8, v17
	v_lshlrev_b16_e32 v3, 8, v19
	v_or_b32_sdwa v2, v16, v2 dst_sel:DWORD dst_unused:UNUSED_PAD src0_sel:BYTE_0 src1_sel:DWORD
	v_or_b32_sdwa v3, v18, v3 dst_sel:WORD_1 dst_unused:UNUSED_PAD src0_sel:BYTE_0 src1_sel:DWORD
	s_nop 0
	v_or_b32_sdwa v4, v2, v3 dst_sel:DWORD dst_unused:UNUSED_PAD src0_sel:WORD_0 src1_sel:DWORD
	v_lshl_add_u64 v[2:3], s[36:37], 0, v[0:1]
	s_and_saveexec_b64 s[36:37], vcc
	s_cbranch_execz .LBB6_37
; %bb.36:
	global_store_byte v[2:3], v7, off
.LBB6_37:
	s_or_b64 exec, exec, s[36:37]
	s_and_saveexec_b64 s[36:37], s[0:1]
	s_cbranch_execz .LBB6_39
; %bb.38:
	v_lshrrev_b32_e32 v8, 8, v7
	global_store_byte v[2:3], v8, off offset:256
.LBB6_39:
	s_or_b64 exec, exec, s[36:37]
	s_mov_b32 s0, 0x7060104
	v_perm_b32 v8, v7, v7, s0
	v_cndmask_b32_e64 v9, v8, v7, s[2:3]
	s_and_saveexec_b64 s[0:1], s[2:3]
	s_cbranch_execz .LBB6_41
; %bb.40:
	global_store_byte_d16_hi v[2:3], v9, off offset:512
.LBB6_41:
	s_or_b64 exec, exec, s[0:1]
	s_mov_b32 s0, 0x7020504
	v_perm_b32 v8, v8, v9, s0
	v_cndmask_b32_e64 v7, v8, v7, s[4:5]
	s_and_saveexec_b64 s[0:1], s[4:5]
	s_cbranch_execz .LBB6_43
; %bb.42:
	v_lshrrev_b32_e32 v7, 24, v7
	global_store_byte v[2:3], v7, off offset:768
.LBB6_43:
	s_or_b64 exec, exec, s[0:1]
	s_and_saveexec_b64 s[0:1], s[6:7]
	s_cbranch_execz .LBB6_45
; %bb.44:
	global_store_byte v[2:3], v6, off offset:1024
.LBB6_45:
	s_or_b64 exec, exec, s[0:1]
	s_mov_b32 s0, 0x3020104
	v_perm_b32 v7, v6, v6, s0
	v_cndmask_b32_e64 v8, v7, v6, s[8:9]
	s_and_saveexec_b64 s[0:1], s[8:9]
	s_cbranch_execz .LBB6_47
; %bb.46:
	v_lshrrev_b32_e32 v9, 8, v8
	global_store_byte v[2:3], v9, off offset:1280
.LBB6_47:
	s_or_b64 exec, exec, s[0:1]
	s_mov_b32 s0, 0x7060104
	v_perm_b32 v7, v7, v8, s0
	v_cndmask_b32_e64 v8, v7, v6, s[10:11]
	s_and_saveexec_b64 s[0:1], s[10:11]
	s_cbranch_execz .LBB6_49
; %bb.48:
	global_store_byte_d16_hi v[2:3], v8, off offset:1536
.LBB6_49:
	s_or_b64 exec, exec, s[0:1]
	s_mov_b32 s0, 0x7020504
	v_perm_b32 v7, v7, v8, s0
	v_cndmask_b32_e64 v6, v7, v6, s[12:13]
	s_and_saveexec_b64 s[0:1], s[12:13]
	s_cbranch_execz .LBB6_51
; %bb.50:
	v_lshrrev_b32_e32 v6, 24, v6
	global_store_byte v[2:3], v6, off offset:1792
.LBB6_51:
	s_or_b64 exec, exec, s[0:1]
	s_and_saveexec_b64 s[0:1], s[14:15]
	s_cbranch_execz .LBB6_53
; %bb.52:
	global_store_byte v[2:3], v5, off offset:2048
.LBB6_53:
	s_or_b64 exec, exec, s[0:1]
	s_mov_b32 s0, 0x3020104
	v_perm_b32 v6, v5, v5, s0
	v_cndmask_b32_e64 v7, v6, v5, s[16:17]
	;; [unrolled: 35-line block ×3, first 2 shown]
	s_and_saveexec_b64 s[0:1], s[24:25]
	s_cbranch_execz .LBB6_63
; %bb.62:
	v_lshrrev_b32_e32 v7, 8, v6
	global_store_byte v[2:3], v7, off offset:3328
.LBB6_63:
	s_or_b64 exec, exec, s[0:1]
	s_mov_b32 s0, 0x7060104
	v_perm_b32 v6, v5, v6, s0
	s_and_saveexec_b64 s[0:1], s[26:27]
	s_cbranch_execz .LBB6_65
; %bb.64:
	v_cndmask_b32_e64 v5, v6, v4, s[26:27]
	global_store_byte_d16_hi v[2:3], v5, off offset:3584
.LBB6_65:
	s_or_b64 exec, exec, s[0:1]
                                        ; implicit-def: $vgpr5
	s_and_saveexec_b64 s[0:1], s[28:29]
; %bb.66:
	v_cndmask_b32_e64 v2, v6, v4, s[28:29]
	v_lshrrev_b32_e32 v5, 24, v2
	s_or_b64 s[34:35], s[34:35], exec
; %bb.67:
	s_or_b64 exec, exec, s[0:1]
.LBB6_68:
	s_and_saveexec_b64 s[0:1], s[34:35]
	s_cbranch_execnz .LBB6_70
; %bb.69:
	s_endpgm
.LBB6_70:
	s_add_u32 s0, s30, s33
	s_addc_u32 s1, s31, 0
	v_lshl_add_u64 v[0:1], s[0:1], 0, v[0:1]
	s_waitcnt vmcnt(15)
	global_store_byte v[0:1], v5, off offset:3840
	s_endpgm
	.section	.rodata,"a",@progbits
	.p2align	6, 0x0
	.amdhsa_kernel _ZN7rocprim17ROCPRIM_304000_NS6detail16transform_kernelINS1_24wrapped_transform_configINS0_14default_configEhEEhPhS6_NS0_8identityIhEEEEvT1_mT2_T3_
		.amdhsa_group_segment_fixed_size 0
		.amdhsa_private_segment_fixed_size 0
		.amdhsa_kernarg_size 288
		.amdhsa_user_sgpr_count 2
		.amdhsa_user_sgpr_dispatch_ptr 0
		.amdhsa_user_sgpr_queue_ptr 0
		.amdhsa_user_sgpr_kernarg_segment_ptr 1
		.amdhsa_user_sgpr_dispatch_id 0
		.amdhsa_user_sgpr_kernarg_preload_length 0
		.amdhsa_user_sgpr_kernarg_preload_offset 0
		.amdhsa_user_sgpr_private_segment_size 0
		.amdhsa_uses_dynamic_stack 0
		.amdhsa_enable_private_segment 0
		.amdhsa_system_sgpr_workgroup_id_x 1
		.amdhsa_system_sgpr_workgroup_id_y 0
		.amdhsa_system_sgpr_workgroup_id_z 0
		.amdhsa_system_sgpr_workgroup_info 0
		.amdhsa_system_vgpr_workitem_id 0
		.amdhsa_next_free_vgpr 22
		.amdhsa_next_free_sgpr 38
		.amdhsa_accum_offset 24
		.amdhsa_reserve_vcc 1
		.amdhsa_float_round_mode_32 0
		.amdhsa_float_round_mode_16_64 0
		.amdhsa_float_denorm_mode_32 3
		.amdhsa_float_denorm_mode_16_64 3
		.amdhsa_dx10_clamp 1
		.amdhsa_ieee_mode 1
		.amdhsa_fp16_overflow 0
		.amdhsa_tg_split 0
		.amdhsa_exception_fp_ieee_invalid_op 0
		.amdhsa_exception_fp_denorm_src 0
		.amdhsa_exception_fp_ieee_div_zero 0
		.amdhsa_exception_fp_ieee_overflow 0
		.amdhsa_exception_fp_ieee_underflow 0
		.amdhsa_exception_fp_ieee_inexact 0
		.amdhsa_exception_int_div_zero 0
	.end_amdhsa_kernel
	.section	.text._ZN7rocprim17ROCPRIM_304000_NS6detail16transform_kernelINS1_24wrapped_transform_configINS0_14default_configEhEEhPhS6_NS0_8identityIhEEEEvT1_mT2_T3_,"axG",@progbits,_ZN7rocprim17ROCPRIM_304000_NS6detail16transform_kernelINS1_24wrapped_transform_configINS0_14default_configEhEEhPhS6_NS0_8identityIhEEEEvT1_mT2_T3_,comdat
.Lfunc_end6:
	.size	_ZN7rocprim17ROCPRIM_304000_NS6detail16transform_kernelINS1_24wrapped_transform_configINS0_14default_configEhEEhPhS6_NS0_8identityIhEEEEvT1_mT2_T3_, .Lfunc_end6-_ZN7rocprim17ROCPRIM_304000_NS6detail16transform_kernelINS1_24wrapped_transform_configINS0_14default_configEhEEhPhS6_NS0_8identityIhEEEEvT1_mT2_T3_
                                        ; -- End function
	.section	.AMDGPU.csdata,"",@progbits
; Kernel info:
; codeLenInByte = 1768
; NumSgprs: 44
; NumVgprs: 22
; NumAgprs: 0
; TotalNumVgprs: 22
; ScratchSize: 0
; MemoryBound: 0
; FloatMode: 240
; IeeeMode: 1
; LDSByteSize: 0 bytes/workgroup (compile time only)
; SGPRBlocks: 5
; VGPRBlocks: 2
; NumSGPRsForWavesPerEU: 44
; NumVGPRsForWavesPerEU: 22
; AccumOffset: 24
; Occupancy: 8
; WaveLimiterHint : 1
; COMPUTE_PGM_RSRC2:SCRATCH_EN: 0
; COMPUTE_PGM_RSRC2:USER_SGPR: 2
; COMPUTE_PGM_RSRC2:TRAP_HANDLER: 0
; COMPUTE_PGM_RSRC2:TGID_X_EN: 1
; COMPUTE_PGM_RSRC2:TGID_Y_EN: 0
; COMPUTE_PGM_RSRC2:TGID_Z_EN: 0
; COMPUTE_PGM_RSRC2:TIDIG_COMP_CNT: 0
; COMPUTE_PGM_RSRC3_GFX90A:ACCUM_OFFSET: 5
; COMPUTE_PGM_RSRC3_GFX90A:TG_SPLIT: 0
	.section	.text._ZN7rocprim17ROCPRIM_304000_NS6detail18single_scan_kernelILb0ENS1_19wrapped_scan_configINS0_14default_configEhEEPKhPhSt4plusIhEhhEEvT1_mT4_T2_T3_,"axG",@progbits,_ZN7rocprim17ROCPRIM_304000_NS6detail18single_scan_kernelILb0ENS1_19wrapped_scan_configINS0_14default_configEhEEPKhPhSt4plusIhEhhEEvT1_mT4_T2_T3_,comdat
	.protected	_ZN7rocprim17ROCPRIM_304000_NS6detail18single_scan_kernelILb0ENS1_19wrapped_scan_configINS0_14default_configEhEEPKhPhSt4plusIhEhhEEvT1_mT4_T2_T3_ ; -- Begin function _ZN7rocprim17ROCPRIM_304000_NS6detail18single_scan_kernelILb0ENS1_19wrapped_scan_configINS0_14default_configEhEEPKhPhSt4plusIhEhhEEvT1_mT4_T2_T3_
	.globl	_ZN7rocprim17ROCPRIM_304000_NS6detail18single_scan_kernelILb0ENS1_19wrapped_scan_configINS0_14default_configEhEEPKhPhSt4plusIhEhhEEvT1_mT4_T2_T3_
	.p2align	8
	.type	_ZN7rocprim17ROCPRIM_304000_NS6detail18single_scan_kernelILb0ENS1_19wrapped_scan_configINS0_14default_configEhEEPKhPhSt4plusIhEhhEEvT1_mT4_T2_T3_,@function
_ZN7rocprim17ROCPRIM_304000_NS6detail18single_scan_kernelILb0ENS1_19wrapped_scan_configINS0_14default_configEhEEPKhPhSt4plusIhEhhEEvT1_mT4_T2_T3_: ; @_ZN7rocprim17ROCPRIM_304000_NS6detail18single_scan_kernelILb0ENS1_19wrapped_scan_configINS0_14default_configEhEEPKhPhSt4plusIhEhhEEvT1_mT4_T2_T3_
; %bb.0:
	s_load_dwordx4 s[48:51], s[0:1], 0x0
	v_mov_b32_e32 v1, 0
	s_waitcnt lgkmcnt(0)
	global_load_ubyte v4, v1, s[48:49]
	v_lshl_add_u64 v[2:3], s[48:49], 0, v[0:1]
	v_cmp_gt_u32_e64 s[38:39], s50, v0
	s_waitcnt vmcnt(0)
	v_mov_b32_e32 v5, v4
	s_and_saveexec_b64 s[2:3], s[38:39]
	s_cbranch_execz .LBB7_2
; %bb.1:
	global_load_ubyte v5, v[2:3], off
.LBB7_2:
	s_or_b64 exec, exec, s[2:3]
	v_or_b32_e32 v6, 0x100, v0
	v_cmp_gt_u32_e64 s[2:3], s50, v6
	v_mov_b32_e32 v6, v4
	s_and_saveexec_b64 s[4:5], s[2:3]
	s_cbranch_execz .LBB7_4
; %bb.3:
	global_load_ubyte v6, v[2:3], off offset:256
.LBB7_4:
	s_or_b64 exec, exec, s[4:5]
	v_or_b32_e32 v7, 0x200, v0
	v_cmp_gt_u32_e64 s[4:5], s50, v7
	v_mov_b32_e32 v7, v4
	s_and_saveexec_b64 s[6:7], s[4:5]
	s_cbranch_execz .LBB7_6
; %bb.5:
	global_load_ubyte v7, v[2:3], off offset:512
.LBB7_6:
	;; [unrolled: 9-line block ×15, first 2 shown]
	s_or_b64 exec, exec, s[34:35]
	v_or_b32_e32 v21, 0x1000, v0
	v_cmp_gt_u32_e64 s[34:35], s50, v21
	v_mov_b32_e32 v21, v4
	s_and_saveexec_b64 s[36:37], s[34:35]
	s_cbranch_execz .LBB7_34
; %bb.33:
	v_add_co_u32_e32 v22, vcc, 0x1000, v2
	s_nop 1
	v_addc_co_u32_e32 v23, vcc, 0, v3, vcc
	global_load_ubyte v21, v[22:23], off
.LBB7_34:
	s_or_b64 exec, exec, s[36:37]
	v_or_b32_e32 v22, 0x1100, v0
	v_cmp_gt_u32_e64 s[36:37], s50, v22
	v_mov_b32_e32 v22, v4
	s_and_saveexec_b64 s[40:41], s[36:37]
	s_cbranch_execz .LBB7_36
; %bb.35:
	v_add_co_u32_e32 v22, vcc, 0x1000, v2
	s_nop 1
	v_addc_co_u32_e32 v23, vcc, 0, v3, vcc
	global_load_ubyte v22, v[22:23], off offset:256
.LBB7_36:
	s_or_b64 exec, exec, s[40:41]
	v_or_b32_e32 v23, 0x1200, v0
	v_cmp_gt_u32_e64 s[40:41], s50, v23
	v_mov_b32_e32 v23, v4
	s_and_saveexec_b64 s[42:43], s[40:41]
	s_cbranch_execz .LBB7_38
; %bb.37:
	v_add_co_u32_e32 v24, vcc, 0x1000, v2
	s_nop 1
	v_addc_co_u32_e32 v25, vcc, 0, v3, vcc
	global_load_ubyte v23, v[24:25], off offset:512
.LBB7_38:
	;; [unrolled: 12-line block ×6, first 2 shown]
	s_or_b64 exec, exec, s[52:53]
	v_or_b32_e32 v28, 0x1700, v0
	v_cmp_gt_u32_e64 s[50:51], s50, v28
	s_and_saveexec_b64 s[52:53], s[50:51]
	s_cbranch_execz .LBB7_48
; %bb.47:
	v_add_co_u32_e32 v2, vcc, 0x1000, v2
	s_nop 1
	v_addc_co_u32_e32 v3, vcc, 0, v3, vcc
	global_load_ubyte v4, v[2:3], off offset:1792
.LBB7_48:
	s_or_b64 exec, exec, s[52:53]
	s_waitcnt vmcnt(0)
	ds_write_b8 v0, v5
	ds_write_b8 v0, v6 offset:256
	ds_write_b8 v0, v7 offset:512
	;; [unrolled: 1-line block ×23, first 2 shown]
	v_mad_u32_u24 v6, v0, 23, v0
	s_waitcnt lgkmcnt(0)
	s_barrier
	ds_read2_b64 v[2:5], v6 offset1:1
	ds_read_b64 v[6:7], v6 offset:16
	s_waitcnt lgkmcnt(0)
	s_barrier
	v_lshrrev_b32_e32 v13, 8, v2
	v_add_u16_e32 v14, v13, v2
	v_add_u16_sdwa v14, v14, v2 dst_sel:DWORD dst_unused:UNUSED_PAD src0_sel:DWORD src1_sel:WORD_1
	v_add_u16_sdwa v14, v14, v2 dst_sel:DWORD dst_unused:UNUSED_PAD src0_sel:DWORD src1_sel:BYTE_3
	v_lshrrev_b32_e32 v12, 8, v3
	v_add_u16_e32 v14, v14, v3
	v_add_u16_e32 v14, v14, v12
	v_add_u16_sdwa v14, v14, v3 dst_sel:DWORD dst_unused:UNUSED_PAD src0_sel:DWORD src1_sel:WORD_1
	v_add_u16_sdwa v14, v14, v3 dst_sel:DWORD dst_unused:UNUSED_PAD src0_sel:DWORD src1_sel:BYTE_3
	v_lshrrev_b32_e32 v11, 8, v4
	v_add_u16_e32 v14, v14, v4
	;; [unrolled: 5-line block ×5, first 2 shown]
	v_add_u16_e32 v14, v14, v8
	v_add_u16_sdwa v14, v14, v7 dst_sel:DWORD dst_unused:UNUSED_PAD src0_sel:DWORD src1_sel:WORD_1
	v_add_u16_sdwa v15, v14, v7 dst_sel:DWORD dst_unused:UNUSED_PAD src0_sel:DWORD src1_sel:BYTE_3
	v_mbcnt_lo_u32_b32 v14, -1, 0
	v_mbcnt_hi_u32_b32 v14, -1, v14
	v_and_b32_e32 v16, 15, v14
	v_and_b32_e32 v17, 0xff, v15
	v_cmp_ne_u32_e32 vcc, 0, v16
	s_nop 0
	v_mov_b32_dpp v17, v17 row_shr:1 row_mask:0xf bank_mask:0xf
	v_cndmask_b32_e32 v17, 0, v17, vcc
	v_add_u16_e32 v15, v17, v15
	v_and_b32_e32 v17, 0xff, v15
	v_cmp_lt_u32_e32 vcc, 1, v16
	s_nop 0
	v_mov_b32_dpp v17, v17 row_shr:2 row_mask:0xf bank_mask:0xf
	v_cndmask_b32_e32 v17, 0, v17, vcc
	v_add_u16_e32 v15, v15, v17
	v_and_b32_e32 v17, 0xff, v15
	v_cmp_lt_u32_e32 vcc, 3, v16
	;; [unrolled: 6-line block ×3, first 2 shown]
	s_nop 0
	v_mov_b32_dpp v17, v17 row_shr:8 row_mask:0xf bank_mask:0xf
	v_cndmask_b32_e32 v16, 0, v17, vcc
	v_add_u16_e32 v15, v15, v16
	v_and_b32_e32 v16, 0xff, v15
	v_and_b32_e32 v17, 16, v14
	v_cmp_ne_u32_e32 vcc, 0, v17
	v_mov_b32_dpp v16, v16 row_bcast:15 row_mask:0xf bank_mask:0xf
	v_lshrrev_b32_e32 v17, 6, v0
	v_cndmask_b32_e32 v16, 0, v16, vcc
	v_add_u16_e32 v15, v15, v16
	v_and_b32_e32 v16, 0xff, v15
	v_cmp_lt_u32_e32 vcc, 31, v14
	s_nop 0
	v_mov_b32_dpp v16, v16 row_bcast:31 row_mask:0xf bank_mask:0xf
	v_cndmask_b32_e32 v16, 0, v16, vcc
	v_add_u16_e32 v16, v15, v16
	v_or_b32_e32 v15, 63, v0
	v_cmp_eq_u32_e32 vcc, v15, v0
	s_and_saveexec_b64 s[52:53], vcc
	s_cbranch_execz .LBB7_50
; %bb.49:
	ds_write_b8 v17, v16
.LBB7_50:
	s_or_b64 exec, exec, s[52:53]
	v_cmp_gt_u32_e32 vcc, 4, v0
	s_waitcnt lgkmcnt(0)
	s_barrier
	s_and_saveexec_b64 s[52:53], vcc
	s_cbranch_execz .LBB7_52
; %bb.51:
	ds_read_u8 v15, v0
	v_and_b32_e32 v18, 3, v14
	v_cmp_ne_u32_e32 vcc, 0, v18
	s_waitcnt lgkmcnt(0)
	v_and_b32_e32 v19, 0xff, v15
	s_nop 1
	v_mov_b32_dpp v19, v19 row_shr:1 row_mask:0xf bank_mask:0xf
	v_cndmask_b32_e32 v19, 0, v19, vcc
	v_add_u16_e32 v15, v19, v15
	v_and_b32_e32 v19, 0xff, v15
	v_cmp_lt_u32_e32 vcc, 1, v18
	s_nop 0
	v_mov_b32_dpp v19, v19 row_shr:2 row_mask:0xf bank_mask:0xf
	v_cndmask_b32_e32 v18, 0, v19, vcc
	v_add_u16_e32 v15, v15, v18
	ds_write_b8 v0, v15
.LBB7_52:
	s_or_b64 exec, exec, s[52:53]
	v_mul_u32_u24_e32 v15, 23, v0
	v_cmp_lt_u32_e32 vcc, 63, v0
	s_waitcnt lgkmcnt(0)
	s_barrier
	s_waitcnt lgkmcnt(0)
                                        ; implicit-def: $vgpr18
	s_and_saveexec_b64 s[52:53], vcc
	s_cbranch_execz .LBB7_54
; %bb.53:
	v_add_u32_e32 v17, -1, v17
	ds_read_u8 v18, v17
	s_waitcnt lgkmcnt(0)
	v_add_u16_e32 v16, v18, v16
.LBB7_54:
	s_or_b64 exec, exec, s[52:53]
	v_add_u32_e32 v17, -1, v14
	v_and_b32_e32 v19, 64, v14
	v_cmp_lt_i32_e32 vcc, v17, v19
	v_and_b32_e32 v16, 0xff, v16
	v_add_u32_e32 v15, v0, v15
	v_cndmask_b32_e32 v17, v17, v14, vcc
	v_lshlrev_b32_e32 v17, 2, v17
	ds_bpermute_b32 v16, v17, v16
	v_cmp_eq_u32_e32 vcc, 0, v14
	s_waitcnt lgkmcnt(0)
	s_barrier
	v_cndmask_b32_e32 v14, v16, v18, vcc
	v_cmp_ne_u32_e32 vcc, 0, v0
	s_load_dwordx2 s[0:1], s[0:1], 0x18
	s_nop 0
	v_cndmask_b32_e32 v14, 0, v14, vcc
	v_add_u16_e32 v14, v14, v2
	v_add_u16_e32 v13, v14, v13
	v_add_u16_sdwa v16, v13, v2 dst_sel:DWORD dst_unused:UNUSED_PAD src0_sel:DWORD src1_sel:WORD_1
	v_add_u16_sdwa v2, v16, v2 dst_sel:DWORD dst_unused:UNUSED_PAD src0_sel:DWORD src1_sel:BYTE_3
	v_add_u16_e32 v17, v2, v3
	v_add_u16_e32 v12, v17, v12
	v_add_u16_sdwa v18, v12, v3 dst_sel:DWORD dst_unused:UNUSED_PAD src0_sel:DWORD src1_sel:WORD_1
	v_add_u16_sdwa v3, v18, v3 dst_sel:DWORD dst_unused:UNUSED_PAD src0_sel:DWORD src1_sel:BYTE_3
	;; [unrolled: 4-line block ×5, first 2 shown]
	v_lshlrev_b16_e32 v13, 8, v13
	v_lshlrev_b16_e32 v2, 8, v2
	v_lshlrev_b16_e32 v12, 8, v12
	v_lshlrev_b16_e32 v3, 8, v3
	v_lshlrev_b16_e32 v11, 8, v11
	v_lshlrev_b16_e32 v4, 8, v4
	v_lshlrev_b16_e32 v10, 8, v10
	v_lshlrev_b16_e32 v5, 8, v5
	v_add_u16_e32 v25, v6, v7
	v_or_b32_sdwa v13, v14, v13 dst_sel:DWORD dst_unused:UNUSED_PAD src0_sel:BYTE_0 src1_sel:DWORD
	v_or_b32_sdwa v2, v16, v2 dst_sel:WORD_1 dst_unused:UNUSED_PAD src0_sel:BYTE_0 src1_sel:DWORD
	v_or_b32_sdwa v12, v17, v12 dst_sel:DWORD dst_unused:UNUSED_PAD src0_sel:BYTE_0 src1_sel:DWORD
	v_or_b32_sdwa v3, v18, v3 dst_sel:WORD_1 dst_unused:UNUSED_PAD src0_sel:BYTE_0 src1_sel:DWORD
	v_or_b32_sdwa v11, v19, v11 dst_sel:DWORD dst_unused:UNUSED_PAD src0_sel:BYTE_0 src1_sel:DWORD
	v_or_b32_sdwa v4, v20, v4 dst_sel:WORD_1 dst_unused:UNUSED_PAD src0_sel:BYTE_0 src1_sel:DWORD
	v_or_b32_sdwa v10, v21, v10 dst_sel:DWORD dst_unused:UNUSED_PAD src0_sel:BYTE_0 src1_sel:DWORD
	v_or_b32_sdwa v5, v22, v5 dst_sel:WORD_1 dst_unused:UNUSED_PAD src0_sel:BYTE_0 src1_sel:DWORD
	v_add_u16_e32 v8, v25, v8
	v_or_b32_sdwa v2, v13, v2 dst_sel:DWORD dst_unused:UNUSED_PAD src0_sel:WORD_0 src1_sel:DWORD
	v_or_b32_sdwa v3, v12, v3 dst_sel:DWORD dst_unused:UNUSED_PAD src0_sel:WORD_0 src1_sel:DWORD
	;; [unrolled: 1-line block ×4, first 2 shown]
	v_add_u16_sdwa v26, v8, v7 dst_sel:DWORD dst_unused:UNUSED_PAD src0_sel:DWORD src1_sel:WORD_1
	ds_write2_b64 v15, v[2:3], v[4:5] offset1:1
	v_lshlrev_b16_e32 v2, 8, v9
	v_lshlrev_b16_e32 v3, 8, v6
	v_add_u16_sdwa v7, v26, v7 dst_sel:DWORD dst_unused:UNUSED_PAD src0_sel:DWORD src1_sel:BYTE_3
	v_or_b32_sdwa v2, v23, v2 dst_sel:DWORD dst_unused:UNUSED_PAD src0_sel:BYTE_0 src1_sel:DWORD
	v_or_b32_sdwa v3, v24, v3 dst_sel:WORD_1 dst_unused:UNUSED_PAD src0_sel:BYTE_0 src1_sel:DWORD
	v_lshlrev_b16_e32 v4, 8, v7
	v_or_b32_sdwa v2, v2, v3 dst_sel:DWORD dst_unused:UNUSED_PAD src0_sel:WORD_0 src1_sel:DWORD
	v_lshlrev_b16_e32 v3, 8, v8
	v_or_b32_sdwa v3, v25, v3 dst_sel:DWORD dst_unused:UNUSED_PAD src0_sel:BYTE_0 src1_sel:DWORD
	v_or_b32_sdwa v4, v26, v4 dst_sel:WORD_1 dst_unused:UNUSED_PAD src0_sel:BYTE_0 src1_sel:DWORD
	s_nop 0
	v_or_b32_sdwa v3, v3, v4 dst_sel:DWORD dst_unused:UNUSED_PAD src0_sel:WORD_0 src1_sel:DWORD
	ds_write_b64 v15, v[2:3] offset:16
	s_waitcnt lgkmcnt(0)
	s_barrier
	ds_read_u8 v26, v0 offset:256
	ds_read_u8 v25, v0 offset:512
	;; [unrolled: 1-line block ×23, first 2 shown]
	v_lshl_add_u64 v[2:3], s[0:1], 0, v[0:1]
	s_and_saveexec_b64 s[0:1], s[38:39]
	s_cbranch_execnz .LBB7_79
; %bb.55:
	s_or_b64 exec, exec, s[0:1]
	s_and_saveexec_b64 s[0:1], s[2:3]
	s_cbranch_execnz .LBB7_80
.LBB7_56:
	s_or_b64 exec, exec, s[0:1]
	s_and_saveexec_b64 s[0:1], s[4:5]
	s_cbranch_execnz .LBB7_81
.LBB7_57:
	s_or_b64 exec, exec, s[0:1]
	s_and_saveexec_b64 s[0:1], s[6:7]
	s_cbranch_execnz .LBB7_82
.LBB7_58:
	s_or_b64 exec, exec, s[0:1]
	s_and_saveexec_b64 s[0:1], s[8:9]
	s_cbranch_execnz .LBB7_83
.LBB7_59:
	s_or_b64 exec, exec, s[0:1]
	s_and_saveexec_b64 s[0:1], s[10:11]
	s_cbranch_execnz .LBB7_84
.LBB7_60:
	s_or_b64 exec, exec, s[0:1]
	s_and_saveexec_b64 s[0:1], s[12:13]
	s_cbranch_execnz .LBB7_85
.LBB7_61:
	s_or_b64 exec, exec, s[0:1]
	s_and_saveexec_b64 s[0:1], s[14:15]
	s_cbranch_execnz .LBB7_86
.LBB7_62:
	s_or_b64 exec, exec, s[0:1]
	s_and_saveexec_b64 s[0:1], s[16:17]
	s_cbranch_execnz .LBB7_87
.LBB7_63:
	s_or_b64 exec, exec, s[0:1]
	s_and_saveexec_b64 s[0:1], s[18:19]
	s_cbranch_execnz .LBB7_88
.LBB7_64:
	s_or_b64 exec, exec, s[0:1]
	s_and_saveexec_b64 s[0:1], s[20:21]
	s_cbranch_execnz .LBB7_89
.LBB7_65:
	s_or_b64 exec, exec, s[0:1]
	s_and_saveexec_b64 s[0:1], s[22:23]
	s_cbranch_execnz .LBB7_90
.LBB7_66:
	s_or_b64 exec, exec, s[0:1]
	s_and_saveexec_b64 s[0:1], s[24:25]
	s_cbranch_execnz .LBB7_91
.LBB7_67:
	s_or_b64 exec, exec, s[0:1]
	s_and_saveexec_b64 s[0:1], s[26:27]
	s_cbranch_execnz .LBB7_92
.LBB7_68:
	s_or_b64 exec, exec, s[0:1]
	s_and_saveexec_b64 s[0:1], s[28:29]
	s_cbranch_execnz .LBB7_93
.LBB7_69:
	s_or_b64 exec, exec, s[0:1]
	s_and_saveexec_b64 s[0:1], s[30:31]
	s_cbranch_execnz .LBB7_94
.LBB7_70:
	s_or_b64 exec, exec, s[0:1]
	s_and_saveexec_b64 s[0:1], s[34:35]
	s_cbranch_execnz .LBB7_95
.LBB7_71:
	s_or_b64 exec, exec, s[0:1]
	s_and_saveexec_b64 s[0:1], s[36:37]
	s_cbranch_execnz .LBB7_96
.LBB7_72:
	s_or_b64 exec, exec, s[0:1]
	s_and_saveexec_b64 s[0:1], s[40:41]
	s_cbranch_execnz .LBB7_97
.LBB7_73:
	s_or_b64 exec, exec, s[0:1]
	s_and_saveexec_b64 s[0:1], s[42:43]
	s_cbranch_execnz .LBB7_98
.LBB7_74:
	s_or_b64 exec, exec, s[0:1]
	s_and_saveexec_b64 s[0:1], s[44:45]
	s_cbranch_execnz .LBB7_99
.LBB7_75:
	s_or_b64 exec, exec, s[0:1]
	s_and_saveexec_b64 s[0:1], s[46:47]
	s_cbranch_execnz .LBB7_100
.LBB7_76:
	s_or_b64 exec, exec, s[0:1]
	s_and_saveexec_b64 s[0:1], s[48:49]
	s_cbranch_execnz .LBB7_101
.LBB7_77:
	s_or_b64 exec, exec, s[0:1]
	s_and_saveexec_b64 s[0:1], s[50:51]
	s_cbranch_execnz .LBB7_102
.LBB7_78:
	s_endpgm
.LBB7_79:
	ds_read_u8 v0, v0
	s_waitcnt lgkmcnt(0)
	global_store_byte v[2:3], v0, off
	s_or_b64 exec, exec, s[0:1]
	s_and_saveexec_b64 s[0:1], s[2:3]
	s_cbranch_execz .LBB7_56
.LBB7_80:
	s_waitcnt lgkmcnt(14)
	global_store_byte v[2:3], v26, off offset:256
	s_or_b64 exec, exec, s[0:1]
	s_and_saveexec_b64 s[0:1], s[4:5]
	s_cbranch_execz .LBB7_57
.LBB7_81:
	s_waitcnt lgkmcnt(14)
	global_store_byte v[2:3], v25, off offset:512
	s_or_b64 exec, exec, s[0:1]
	s_and_saveexec_b64 s[0:1], s[6:7]
	s_cbranch_execz .LBB7_58
.LBB7_82:
	s_waitcnt lgkmcnt(14)
	global_store_byte v[2:3], v24, off offset:768
	s_or_b64 exec, exec, s[0:1]
	s_and_saveexec_b64 s[0:1], s[8:9]
	s_cbranch_execz .LBB7_59
.LBB7_83:
	s_waitcnt lgkmcnt(14)
	global_store_byte v[2:3], v23, off offset:1024
	s_or_b64 exec, exec, s[0:1]
	s_and_saveexec_b64 s[0:1], s[10:11]
	s_cbranch_execz .LBB7_60
.LBB7_84:
	s_waitcnt lgkmcnt(14)
	global_store_byte v[2:3], v22, off offset:1280
	s_or_b64 exec, exec, s[0:1]
	s_and_saveexec_b64 s[0:1], s[12:13]
	s_cbranch_execz .LBB7_61
.LBB7_85:
	s_waitcnt lgkmcnt(14)
	global_store_byte v[2:3], v21, off offset:1536
	s_or_b64 exec, exec, s[0:1]
	s_and_saveexec_b64 s[0:1], s[14:15]
	s_cbranch_execz .LBB7_62
.LBB7_86:
	s_waitcnt lgkmcnt(14)
	global_store_byte v[2:3], v20, off offset:1792
	s_or_b64 exec, exec, s[0:1]
	s_and_saveexec_b64 s[0:1], s[16:17]
	s_cbranch_execz .LBB7_63
.LBB7_87:
	s_waitcnt lgkmcnt(14)
	global_store_byte v[2:3], v19, off offset:2048
	s_or_b64 exec, exec, s[0:1]
	s_and_saveexec_b64 s[0:1], s[18:19]
	s_cbranch_execz .LBB7_64
.LBB7_88:
	s_waitcnt lgkmcnt(14)
	global_store_byte v[2:3], v18, off offset:2304
	s_or_b64 exec, exec, s[0:1]
	s_and_saveexec_b64 s[0:1], s[20:21]
	s_cbranch_execz .LBB7_65
.LBB7_89:
	s_waitcnt lgkmcnt(13)
	global_store_byte v[2:3], v17, off offset:2560
	s_or_b64 exec, exec, s[0:1]
	s_and_saveexec_b64 s[0:1], s[22:23]
	s_cbranch_execz .LBB7_66
.LBB7_90:
	s_waitcnt lgkmcnt(12)
	global_store_byte v[2:3], v16, off offset:2816
	s_or_b64 exec, exec, s[0:1]
	s_and_saveexec_b64 s[0:1], s[24:25]
	s_cbranch_execz .LBB7_67
.LBB7_91:
	s_waitcnt lgkmcnt(11)
	global_store_byte v[2:3], v15, off offset:3072
	s_or_b64 exec, exec, s[0:1]
	s_and_saveexec_b64 s[0:1], s[26:27]
	s_cbranch_execz .LBB7_68
.LBB7_92:
	s_waitcnt lgkmcnt(10)
	global_store_byte v[2:3], v14, off offset:3328
	s_or_b64 exec, exec, s[0:1]
	s_and_saveexec_b64 s[0:1], s[28:29]
	s_cbranch_execz .LBB7_69
.LBB7_93:
	s_waitcnt lgkmcnt(9)
	global_store_byte v[2:3], v13, off offset:3584
	s_or_b64 exec, exec, s[0:1]
	s_and_saveexec_b64 s[0:1], s[30:31]
	s_cbranch_execz .LBB7_70
.LBB7_94:
	s_waitcnt lgkmcnt(8)
	global_store_byte v[2:3], v12, off offset:3840
	s_or_b64 exec, exec, s[0:1]
	s_and_saveexec_b64 s[0:1], s[34:35]
	s_cbranch_execz .LBB7_71
.LBB7_95:
	v_add_co_u32_e32 v0, vcc, 0x1000, v2
	s_nop 1
	v_addc_co_u32_e32 v1, vcc, 0, v3, vcc
	s_waitcnt lgkmcnt(7)
	global_store_byte v[0:1], v11, off
	s_or_b64 exec, exec, s[0:1]
	s_and_saveexec_b64 s[0:1], s[36:37]
	s_cbranch_execz .LBB7_72
.LBB7_96:
	v_add_co_u32_e32 v0, vcc, 0x1000, v2
	s_nop 1
	v_addc_co_u32_e32 v1, vcc, 0, v3, vcc
	s_waitcnt lgkmcnt(6)
	global_store_byte v[0:1], v10, off offset:256
	s_or_b64 exec, exec, s[0:1]
	s_and_saveexec_b64 s[0:1], s[40:41]
	s_cbranch_execz .LBB7_73
.LBB7_97:
	v_add_co_u32_e32 v0, vcc, 0x1000, v2
	s_nop 1
	v_addc_co_u32_e32 v1, vcc, 0, v3, vcc
	s_waitcnt lgkmcnt(5)
	global_store_byte v[0:1], v9, off offset:512
	s_or_b64 exec, exec, s[0:1]
	s_and_saveexec_b64 s[0:1], s[42:43]
	s_cbranch_execz .LBB7_74
.LBB7_98:
	v_add_co_u32_e32 v0, vcc, 0x1000, v2
	s_nop 1
	v_addc_co_u32_e32 v1, vcc, 0, v3, vcc
	s_waitcnt lgkmcnt(4)
	global_store_byte v[0:1], v8, off offset:768
	s_or_b64 exec, exec, s[0:1]
	s_and_saveexec_b64 s[0:1], s[44:45]
	s_cbranch_execz .LBB7_75
.LBB7_99:
	v_add_co_u32_e32 v0, vcc, 0x1000, v2
	s_nop 1
	v_addc_co_u32_e32 v1, vcc, 0, v3, vcc
	s_waitcnt lgkmcnt(3)
	global_store_byte v[0:1], v7, off offset:1024
	s_or_b64 exec, exec, s[0:1]
	s_and_saveexec_b64 s[0:1], s[46:47]
	s_cbranch_execz .LBB7_76
.LBB7_100:
	v_add_co_u32_e32 v0, vcc, 0x1000, v2
	s_nop 1
	v_addc_co_u32_e32 v1, vcc, 0, v3, vcc
	s_waitcnt lgkmcnt(2)
	global_store_byte v[0:1], v6, off offset:1280
	s_or_b64 exec, exec, s[0:1]
	s_and_saveexec_b64 s[0:1], s[48:49]
	s_cbranch_execz .LBB7_77
.LBB7_101:
	v_add_co_u32_e32 v0, vcc, 0x1000, v2
	s_nop 1
	v_addc_co_u32_e32 v1, vcc, 0, v3, vcc
	s_waitcnt lgkmcnt(1)
	global_store_byte v[0:1], v5, off offset:1536
	s_or_b64 exec, exec, s[0:1]
	s_and_saveexec_b64 s[0:1], s[50:51]
	s_cbranch_execz .LBB7_78
.LBB7_102:
	v_add_co_u32_e32 v0, vcc, 0x1000, v2
	s_nop 1
	v_addc_co_u32_e32 v1, vcc, 0, v3, vcc
	s_waitcnt lgkmcnt(0)
	global_store_byte v[0:1], v4, off offset:1792
	s_endpgm
	.section	.rodata,"a",@progbits
	.p2align	6, 0x0
	.amdhsa_kernel _ZN7rocprim17ROCPRIM_304000_NS6detail18single_scan_kernelILb0ENS1_19wrapped_scan_configINS0_14default_configEhEEPKhPhSt4plusIhEhhEEvT1_mT4_T2_T3_
		.amdhsa_group_segment_fixed_size 6144
		.amdhsa_private_segment_fixed_size 0
		.amdhsa_kernarg_size 36
		.amdhsa_user_sgpr_count 2
		.amdhsa_user_sgpr_dispatch_ptr 0
		.amdhsa_user_sgpr_queue_ptr 0
		.amdhsa_user_sgpr_kernarg_segment_ptr 1
		.amdhsa_user_sgpr_dispatch_id 0
		.amdhsa_user_sgpr_kernarg_preload_length 0
		.amdhsa_user_sgpr_kernarg_preload_offset 0
		.amdhsa_user_sgpr_private_segment_size 0
		.amdhsa_uses_dynamic_stack 0
		.amdhsa_enable_private_segment 0
		.amdhsa_system_sgpr_workgroup_id_x 1
		.amdhsa_system_sgpr_workgroup_id_y 0
		.amdhsa_system_sgpr_workgroup_id_z 0
		.amdhsa_system_sgpr_workgroup_info 0
		.amdhsa_system_vgpr_workitem_id 0
		.amdhsa_next_free_vgpr 30
		.amdhsa_next_free_sgpr 54
		.amdhsa_accum_offset 32
		.amdhsa_reserve_vcc 1
		.amdhsa_float_round_mode_32 0
		.amdhsa_float_round_mode_16_64 0
		.amdhsa_float_denorm_mode_32 3
		.amdhsa_float_denorm_mode_16_64 3
		.amdhsa_dx10_clamp 1
		.amdhsa_ieee_mode 1
		.amdhsa_fp16_overflow 0
		.amdhsa_tg_split 0
		.amdhsa_exception_fp_ieee_invalid_op 0
		.amdhsa_exception_fp_denorm_src 0
		.amdhsa_exception_fp_ieee_div_zero 0
		.amdhsa_exception_fp_ieee_overflow 0
		.amdhsa_exception_fp_ieee_underflow 0
		.amdhsa_exception_fp_ieee_inexact 0
		.amdhsa_exception_int_div_zero 0
	.end_amdhsa_kernel
	.section	.text._ZN7rocprim17ROCPRIM_304000_NS6detail18single_scan_kernelILb0ENS1_19wrapped_scan_configINS0_14default_configEhEEPKhPhSt4plusIhEhhEEvT1_mT4_T2_T3_,"axG",@progbits,_ZN7rocprim17ROCPRIM_304000_NS6detail18single_scan_kernelILb0ENS1_19wrapped_scan_configINS0_14default_configEhEEPKhPhSt4plusIhEhhEEvT1_mT4_T2_T3_,comdat
.Lfunc_end7:
	.size	_ZN7rocprim17ROCPRIM_304000_NS6detail18single_scan_kernelILb0ENS1_19wrapped_scan_configINS0_14default_configEhEEPKhPhSt4plusIhEhhEEvT1_mT4_T2_T3_, .Lfunc_end7-_ZN7rocprim17ROCPRIM_304000_NS6detail18single_scan_kernelILb0ENS1_19wrapped_scan_configINS0_14default_configEhEEPKhPhSt4plusIhEhhEEvT1_mT4_T2_T3_
                                        ; -- End function
	.section	.AMDGPU.csdata,"",@progbits
; Kernel info:
; codeLenInByte = 3544
; NumSgprs: 60
; NumVgprs: 30
; NumAgprs: 0
; TotalNumVgprs: 30
; ScratchSize: 0
; MemoryBound: 0
; FloatMode: 240
; IeeeMode: 1
; LDSByteSize: 6144 bytes/workgroup (compile time only)
; SGPRBlocks: 7
; VGPRBlocks: 3
; NumSGPRsForWavesPerEU: 60
; NumVGPRsForWavesPerEU: 30
; AccumOffset: 32
; Occupancy: 8
; WaveLimiterHint : 0
; COMPUTE_PGM_RSRC2:SCRATCH_EN: 0
; COMPUTE_PGM_RSRC2:USER_SGPR: 2
; COMPUTE_PGM_RSRC2:TRAP_HANDLER: 0
; COMPUTE_PGM_RSRC2:TGID_X_EN: 1
; COMPUTE_PGM_RSRC2:TGID_Y_EN: 0
; COMPUTE_PGM_RSRC2:TGID_Z_EN: 0
; COMPUTE_PGM_RSRC2:TIDIG_COMP_CNT: 0
; COMPUTE_PGM_RSRC3_GFX90A:ACCUM_OFFSET: 7
; COMPUTE_PGM_RSRC3_GFX90A:TG_SPLIT: 0
	.section	.text._ZN2at6native32tensor_kernel_scan_innermost_dimIhSt4plusIhEEEvPT_PKS4_jjjS4_T0_,"axG",@progbits,_ZN2at6native32tensor_kernel_scan_innermost_dimIhSt4plusIhEEEvPT_PKS4_jjjS4_T0_,comdat
	.protected	_ZN2at6native32tensor_kernel_scan_innermost_dimIhSt4plusIhEEEvPT_PKS4_jjjS4_T0_ ; -- Begin function _ZN2at6native32tensor_kernel_scan_innermost_dimIhSt4plusIhEEEvPT_PKS4_jjjS4_T0_
	.globl	_ZN2at6native32tensor_kernel_scan_innermost_dimIhSt4plusIhEEEvPT_PKS4_jjjS4_T0_
	.p2align	8
	.type	_ZN2at6native32tensor_kernel_scan_innermost_dimIhSt4plusIhEEEvPT_PKS4_jjjS4_T0_,@function
_ZN2at6native32tensor_kernel_scan_innermost_dimIhSt4plusIhEEEvPT_PKS4_jjjS4_T0_: ; @_ZN2at6native32tensor_kernel_scan_innermost_dimIhSt4plusIhEEEvPT_PKS4_jjjS4_T0_
; %bb.0:
	s_load_dwordx8 s[12:19], s[0:1], 0x0
	v_bfe_u32 v2, v0, 10, 10
	s_waitcnt lgkmcnt(0)
	s_lshl_b32 s3, 2, s18
	v_mul_lo_u32 v1, s3, v2
	s_mul_hi_u32 s4, s16, s17
	s_mov_b32 s20, s16
	v_add_u32_e32 v20, 0, v1
	s_cmp_lg_u32 s4, 0
	s_mov_b64 s[4:5], -1
	s_cbranch_scc1 .LBB8_26
; %bb.1:
	s_load_dword s6, s[0:1], 0x2c
	s_add_u32 s4, s0, 32
	s_addc_u32 s5, s1, 0
	s_waitcnt lgkmcnt(0)
	s_lshr_b32 s6, s6, 16
	s_mul_i32 s21, s2, s6
	s_cmp_ge_u32 s21, s16
	s_cbranch_scc1 .LBB8_25
; %bb.2:
	s_load_dword s26, s[4:5], 0x0
	s_cmp_lg_u32 s17, 0
	v_and_b32_e32 v1, 0x3ff, v0
	s_cselect_b64 s[4:5], -1, 0
	v_lshl_add_u32 v3, 1, s18, v1
	v_add_u32_e32 v12, -1, v20
	v_cndmask_b32_e64 v4, 0, 1, s[4:5]
	v_cmp_eq_u32_e64 s[8:9], 0, v1
	v_add_u32_e32 v13, s3, v12
	s_waitcnt lgkmcnt(0)
	s_mul_i32 s26, s26, s6
	s_add_i32 s27, s18, 1
	v_cmp_ne_u32_e64 s[4:5], 1, v4
	v_mov_b32_e32 v5, 0
	v_add_u32_e32 v14, v20, v1
	v_add_u32_e32 v15, v20, v3
	s_branch .LBB8_4
.LBB8_3:                                ;   in Loop: Header=BB8_4 Depth=1
	s_add_i32 s21, s21, s26
	s_cmp_ge_u32 s21, s16
	s_cbranch_scc1 .LBB8_25
.LBB8_4:                                ; =>This Loop Header: Depth=1
                                        ;     Child Loop BB8_7 Depth 2
                                        ;       Child Loop BB8_16 Depth 3
	s_and_b64 vcc, exec, s[4:5]
	s_cbranch_vccnz .LBB8_3
; %bb.5:                                ;   in Loop: Header=BB8_4 Depth=1
	v_add_u32_e32 v10, s21, v2
	v_mul_lo_u32 v4, v10, s17
	v_lshl_add_u64 v[6:7], s[14:15], 0, v[4:5]
	v_lshl_add_u64 v[8:9], s[12:13], 0, v[4:5]
	v_cmp_gt_u32_e32 vcc, s16, v10
	v_cmp_le_u32_e64 s[6:7], s16, v10
	s_mov_b32 s28, 0
	v_mov_b32_e32 v16, s19
	s_branch .LBB8_7
.LBB8_6:                                ;   in Loop: Header=BB8_7 Depth=2
	s_or_b64 exec, exec, s[22:23]
	ds_read_u8 v16, v13
	s_add_i32 s28, s28, s3
	s_cmp_ge_u32 s28, s17
	s_waitcnt lgkmcnt(0)
	s_barrier
	s_cbranch_scc1 .LBB8_3
.LBB8_7:                                ;   Parent Loop BB8_4 Depth=1
                                        ; =>  This Loop Header: Depth=2
                                        ;       Child Loop BB8_16 Depth 3
	v_add_u32_e32 v4, s28, v1
	v_add_u32_e32 v10, s28, v3
	s_and_saveexec_b64 s[22:23], vcc
	s_cbranch_execz .LBB8_14
; %bb.8:                                ;   in Loop: Header=BB8_7 Depth=2
	v_cmp_gt_u32_e64 s[10:11], s17, v4
	v_mov_b32_e32 v11, s19
	s_and_saveexec_b64 s[24:25], s[10:11]
	s_cbranch_execz .LBB8_10
; %bb.9:                                ;   in Loop: Header=BB8_7 Depth=2
	v_lshl_add_u64 v[18:19], v[6:7], 0, v[4:5]
	global_load_ubyte v11, v[18:19], off
.LBB8_10:                               ;   in Loop: Header=BB8_7 Depth=2
	s_or_b64 exec, exec, s[24:25]
	s_waitcnt vmcnt(0)
	ds_write_b8 v14, v11
	v_cmp_gt_u32_e64 s[10:11], s17, v10
	v_mov_b32_e32 v11, s19
	s_and_saveexec_b64 s[24:25], s[10:11]
	s_cbranch_execz .LBB8_12
; %bb.11:                               ;   in Loop: Header=BB8_7 Depth=2
	v_mov_b32_e32 v11, v5
	v_lshl_add_u64 v[18:19], v[6:7], 0, v[10:11]
	global_load_ubyte v11, v[18:19], off
.LBB8_12:                               ;   in Loop: Header=BB8_7 Depth=2
	s_or_b64 exec, exec, s[24:25]
	s_waitcnt vmcnt(0)
	ds_write_b8 v15, v11
	s_and_b64 exec, exec, s[8:9]
	s_cbranch_execz .LBB8_14
; %bb.13:                               ;   in Loop: Header=BB8_7 Depth=2
	ds_read_u8 v11, v20
	s_waitcnt lgkmcnt(0)
	v_add_u16_e32 v11, v11, v16
	ds_write_b8 v20, v11
.LBB8_14:                               ;   in Loop: Header=BB8_7 Depth=2
	s_or_b64 exec, exec, s[22:23]
	s_mov_b64 s[22:23], 0
	v_mov_b32_e32 v11, 0
	s_waitcnt lgkmcnt(0)
	s_barrier
	s_branch .LBB8_16
.LBB8_15:                               ;   in Loop: Header=BB8_16 Depth=3
	s_or_b64 exec, exec, s[10:11]
	v_cmp_eq_u32_e64 s[10:11], s27, v11
	s_or_b64 s[22:23], s[10:11], s[22:23]
	s_waitcnt lgkmcnt(0)
	s_barrier
	s_andn2_b64 exec, exec, s[22:23]
	s_cbranch_execz .LBB8_20
.LBB8_16:                               ;   Parent Loop BB8_4 Depth=1
                                        ;     Parent Loop BB8_7 Depth=2
                                        ; =>    This Inner Loop Header: Depth=3
	v_add_u32_e32 v16, 1, v11
	s_and_saveexec_b64 s[10:11], s[6:7]
	s_xor_b64 s[10:11], exec, s[10:11]
; %bb.17:                               ;   in Loop: Header=BB8_16 Depth=3
	v_add_u32_e32 v11, 1, v11
                                        ; implicit-def: $vgpr16
; %bb.18:                               ;   in Loop: Header=BB8_16 Depth=3
	s_andn2_saveexec_b64 s[10:11], s[10:11]
	s_cbranch_execz .LBB8_15
; %bb.19:                               ;   in Loop: Header=BB8_16 Depth=3
	v_lshlrev_b32_e64 v17, v11, 1
	v_lshrrev_b32_e32 v18, v11, v1
	v_bfm_b32 v11, v11, 0
	v_lshl_or_b32 v17, v18, v16, v17
	v_and_b32_e32 v11, v11, v1
	v_add3_u32 v11, v20, v17, v11
	v_add_u32_e32 v17, v12, v17
	ds_read_u8 v18, v11
	ds_read_u8 v17, v17
	s_waitcnt lgkmcnt(0)
	v_add_u16_e32 v17, v17, v18
	ds_write_b8 v11, v17
	v_mov_b32_e32 v11, v16
	s_branch .LBB8_15
.LBB8_20:                               ;   in Loop: Header=BB8_7 Depth=2
	s_or_b64 exec, exec, s[22:23]
	s_and_saveexec_b64 s[22:23], vcc
	s_cbranch_execz .LBB8_6
; %bb.21:                               ;   in Loop: Header=BB8_7 Depth=2
	v_cmp_gt_u32_e64 s[10:11], s17, v4
	s_and_saveexec_b64 s[24:25], s[10:11]
	s_cbranch_execz .LBB8_23
; %bb.22:                               ;   in Loop: Header=BB8_7 Depth=2
	ds_read_u8 v11, v14
	v_lshl_add_u64 v[16:17], v[8:9], 0, v[4:5]
	s_waitcnt lgkmcnt(0)
	global_store_byte v[16:17], v11, off
.LBB8_23:                               ;   in Loop: Header=BB8_7 Depth=2
	s_or_b64 exec, exec, s[24:25]
	v_cmp_gt_u32_e64 s[10:11], s17, v10
	s_and_b64 exec, exec, s[10:11]
	s_cbranch_execz .LBB8_6
; %bb.24:                               ;   in Loop: Header=BB8_7 Depth=2
	ds_read_u8 v4, v15
	v_mov_b32_e32 v11, v5
	v_lshl_add_u64 v[10:11], v[8:9], 0, v[10:11]
	s_waitcnt lgkmcnt(0)
	global_store_byte v[10:11], v4, off
	s_branch .LBB8_6
.LBB8_25:
	s_mov_b64 s[4:5], 0
.LBB8_26:
	s_andn2_b64 vcc, exec, s[4:5]
	s_cbranch_vccnz .LBB8_53
; %bb.27:
	s_load_dword s3, s[0:1], 0x2c
	s_add_u32 s0, s0, 32
	s_mov_b32 s21, 0
	s_addc_u32 s1, s1, 0
	v_mov_b64_e32 v[4:5], s[20:21]
	s_waitcnt lgkmcnt(0)
	s_lshr_b32 s3, s3, 16
	s_mul_hi_u32 s9, s3, s2
	s_mul_i32 s8, s3, s2
	v_cmp_ge_u64_e32 vcc, s[8:9], v[4:5]
	s_cbranch_vccnz .LBB8_53
; %bb.28:
	s_lshl_b32 s10, 1, s18
	s_load_dword s5, s[0:1], 0x0
	s_and_b32 s4, 0xffff, s3
	s_ashr_i32 s11, s10, 31
	s_cmp_lg_u32 s17, 0
	s_cselect_b64 s[2:3], -1, 0
	v_mov_b32_e32 v3, 0
	s_mov_b32 s22, s17
	s_mov_b32 s23, s21
	v_add_u32_e32 v4, -1, v20
	v_and_b32_e32 v0, 0x3ff, v0
	v_add_u32_e32 v6, s10, v20
	s_lshl_b64 s[16:17], s[10:11], 1
	v_cndmask_b32_e64 v5, 0, 1, s[2:3]
	v_mov_b32_e32 v1, v3
	v_cmp_eq_u32_e64 s[0:1], 0, v0
	s_waitcnt lgkmcnt(0)
	s_mul_i32 s33, s5, s4
	s_add_i32 s18, s18, 1
	v_cmp_ne_u32_e64 s[2:3], 1, v5
	v_add_u32_e32 v21, s16, v4
	v_mov_b64_e32 v[4:5], s[20:21]
	v_add_u32_e32 v22, v20, v0
	v_add_u32_e32 v23, v6, v0
	v_mov_b64_e32 v[6:7], s[22:23]
	s_branch .LBB8_30
.LBB8_29:                               ;   in Loop: Header=BB8_30 Depth=1
	s_add_u32 s8, s8, s33
	s_addc_u32 s9, s9, 0
	v_cmp_ge_u64_e32 vcc, s[8:9], v[4:5]
	s_cbranch_vccnz .LBB8_53
.LBB8_30:                               ; =>This Loop Header: Depth=1
                                        ;     Child Loop BB8_33 Depth 2
                                        ;       Child Loop BB8_43 Depth 3
	s_and_b64 vcc, exec, s[2:3]
	s_cbranch_vccnz .LBB8_29
; %bb.31:                               ;   in Loop: Header=BB8_30 Depth=1
	v_lshl_add_u64 v[12:13], s[8:9], 0, v[2:3]
	v_mov_b64_e32 v[8:9], s[14:15]
	v_mov_b64_e32 v[10:11], s[12:13]
	v_mad_u64_u32 v[8:9], s[4:5], v12, s22, v[8:9]
	v_mul_lo_u32 v14, v13, s22
	v_mad_u64_u32 v[10:11], s[4:5], v12, s22, v[10:11]
	v_add_u32_e32 v9, v14, v9
	v_add_u32_e32 v11, v14, v11
	v_cmp_gt_u64_e64 s[4:5], s[20:21], v[12:13]
	v_cmp_le_u64_e64 s[6:7], s[20:21], v[12:13]
	s_mov_b64 s[24:25], 0
	v_mov_b32_e32 v16, s19
	s_branch .LBB8_33
.LBB8_32:                               ;   in Loop: Header=BB8_33 Depth=2
	s_or_b64 exec, exec, s[26:27]
	ds_read_u8 v16, v21
	s_add_u32 s24, s24, s16
	s_addc_u32 s25, s25, s17
	v_cmp_ge_u64_e32 vcc, s[24:25], v[6:7]
	s_waitcnt lgkmcnt(0)
	s_barrier
	s_cbranch_vccnz .LBB8_29
.LBB8_33:                               ;   Parent Loop BB8_30 Depth=1
                                        ; =>  This Loop Header: Depth=2
                                        ;       Child Loop BB8_43 Depth 3
	v_lshl_add_u64 v[14:15], s[24:25], 0, v[0:1]
	v_lshl_add_u64 v[12:13], v[14:15], 0, s[10:11]
	s_and_saveexec_b64 s[26:27], s[4:5]
	s_cbranch_execz .LBB8_40
; %bb.34:                               ;   in Loop: Header=BB8_33 Depth=2
	v_cmp_gt_u64_e32 vcc, s[22:23], v[14:15]
	v_mov_b32_e32 v17, s19
	s_and_saveexec_b64 s[28:29], vcc
	s_cbranch_execz .LBB8_36
; %bb.35:                               ;   in Loop: Header=BB8_33 Depth=2
	v_lshl_add_u64 v[18:19], v[8:9], 0, v[14:15]
	global_load_ubyte v17, v[18:19], off
.LBB8_36:                               ;   in Loop: Header=BB8_33 Depth=2
	s_or_b64 exec, exec, s[28:29]
	s_waitcnt vmcnt(0)
	ds_write_b8 v22, v17
	v_cmp_gt_u64_e32 vcc, s[22:23], v[12:13]
	v_mov_b32_e32 v17, s19
	s_and_saveexec_b64 s[28:29], vcc
	s_cbranch_execz .LBB8_38
; %bb.37:                               ;   in Loop: Header=BB8_33 Depth=2
	v_lshl_add_u64 v[18:19], v[8:9], 0, v[12:13]
	global_load_ubyte v17, v[18:19], off
.LBB8_38:                               ;   in Loop: Header=BB8_33 Depth=2
	s_or_b64 exec, exec, s[28:29]
	s_waitcnt vmcnt(0)
	ds_write_b8 v23, v17
	s_and_b64 exec, exec, s[0:1]
	s_cbranch_execz .LBB8_40
; %bb.39:                               ;   in Loop: Header=BB8_33 Depth=2
	ds_read_u8 v17, v20
	s_waitcnt lgkmcnt(0)
	v_add_u16_e32 v16, v17, v16
	ds_write_b8 v20, v16
.LBB8_40:                               ;   in Loop: Header=BB8_33 Depth=2
	s_or_b64 exec, exec, s[26:27]
	s_mov_b64 s[26:27], 0
	v_mov_b32_e32 v25, 0
	s_waitcnt lgkmcnt(0)
	s_barrier
	s_branch .LBB8_43
.LBB8_41:                               ;   in Loop: Header=BB8_43 Depth=3
	s_or_b64 exec, exec, s[30:31]
	v_lshrrev_b32_e32 v17, v25, v0
	v_lshl_or_b32 v16, v17, v24, v16
	v_add_u32_e32 v16, v20, v16
	v_add_u32_e32 v17, v16, v18
	v_add_u32_e32 v16, -1, v16
	ds_read_u8 v18, v17
	ds_read_u8 v16, v16
	s_waitcnt lgkmcnt(0)
	v_add_u16_e32 v16, v16, v18
	ds_write_b8 v17, v16
.LBB8_42:                               ;   in Loop: Header=BB8_43 Depth=3
	s_or_b64 exec, exec, s[28:29]
	v_cmp_eq_u32_e32 vcc, s18, v24
	s_or_b64 s[26:27], vcc, s[26:27]
	v_mov_b32_e32 v25, v24
	s_waitcnt lgkmcnt(0)
	s_barrier
	s_andn2_b64 exec, exec, s[26:27]
	s_cbranch_execz .LBB8_48
.LBB8_43:                               ;   Parent Loop BB8_30 Depth=1
                                        ;     Parent Loop BB8_33 Depth=2
                                        ; =>    This Inner Loop Header: Depth=3
	v_add_u32_e32 v24, 1, v25
	s_and_saveexec_b64 s[28:29], s[6:7]
	s_xor_b64 s[28:29], exec, s[28:29]
; %bb.44:                               ;   in Loop: Header=BB8_43 Depth=3
	v_add_u32_e32 v24, 1, v25
                                        ; implicit-def: $vgpr25
; %bb.45:                               ;   in Loop: Header=BB8_43 Depth=3
	s_andn2_saveexec_b64 s[28:29], s[28:29]
	s_cbranch_execz .LBB8_42
; %bb.46:                               ;   in Loop: Header=BB8_43 Depth=3
	v_lshlrev_b32_e64 v16, v25, 1
	v_ashrrev_i32_e32 v17, 31, v16
	v_cmp_ge_u64_e32 vcc, v[0:1], v[16:17]
	v_mov_b64_e32 v[18:19], v[0:1]
	s_and_saveexec_b64 s[30:31], vcc
	s_cbranch_execz .LBB8_41
; %bb.47:                               ;   in Loop: Header=BB8_43 Depth=3
	v_cvt_f32_u32_e32 v17, v16
	v_sub_u32_e32 v18, 0, v16
	v_rcp_iflag_f32_e32 v17, v17
	s_nop 0
	v_mul_f32_e32 v17, 0x4f7ffffe, v17
	v_cvt_u32_f32_e32 v17, v17
	v_mul_lo_u32 v18, v18, v17
	v_mul_hi_u32 v18, v17, v18
	v_add_u32_e32 v17, v17, v18
	v_mul_hi_u32 v17, v0, v17
	v_mul_lo_u32 v17, v17, v16
	v_sub_u32_e32 v17, v0, v17
	v_sub_u32_e32 v18, v17, v16
	v_cmp_ge_u32_e32 vcc, v17, v16
	s_nop 1
	v_cndmask_b32_e32 v17, v17, v18, vcc
	v_sub_u32_e32 v18, v17, v16
	v_cmp_ge_u32_e32 vcc, v17, v16
	s_nop 1
	v_cndmask_b32_e32 v18, v17, v18, vcc
	s_branch .LBB8_41
.LBB8_48:                               ;   in Loop: Header=BB8_33 Depth=2
	s_or_b64 exec, exec, s[26:27]
	s_and_saveexec_b64 s[26:27], s[4:5]
	s_cbranch_execz .LBB8_32
; %bb.49:                               ;   in Loop: Header=BB8_33 Depth=2
	v_cmp_gt_u64_e32 vcc, s[22:23], v[14:15]
	s_and_saveexec_b64 s[28:29], vcc
	s_cbranch_execz .LBB8_51
; %bb.50:                               ;   in Loop: Header=BB8_33 Depth=2
	ds_read_u8 v16, v22
	v_lshl_add_u64 v[14:15], v[10:11], 0, v[14:15]
	s_waitcnt lgkmcnt(0)
	global_store_byte v[14:15], v16, off
.LBB8_51:                               ;   in Loop: Header=BB8_33 Depth=2
	s_or_b64 exec, exec, s[28:29]
	v_cmp_gt_u64_e32 vcc, s[22:23], v[12:13]
	s_and_b64 exec, exec, vcc
	s_cbranch_execz .LBB8_32
; %bb.52:                               ;   in Loop: Header=BB8_33 Depth=2
	ds_read_u8 v14, v23
	v_lshl_add_u64 v[12:13], v[10:11], 0, v[12:13]
	s_waitcnt lgkmcnt(0)
	global_store_byte v[12:13], v14, off
	s_branch .LBB8_32
.LBB8_53:
	s_endpgm
	.section	.rodata,"a",@progbits
	.p2align	6, 0x0
	.amdhsa_kernel _ZN2at6native32tensor_kernel_scan_innermost_dimIhSt4plusIhEEEvPT_PKS4_jjjS4_T0_
		.amdhsa_group_segment_fixed_size 0
		.amdhsa_private_segment_fixed_size 0
		.amdhsa_kernarg_size 288
		.amdhsa_user_sgpr_count 2
		.amdhsa_user_sgpr_dispatch_ptr 0
		.amdhsa_user_sgpr_queue_ptr 0
		.amdhsa_user_sgpr_kernarg_segment_ptr 1
		.amdhsa_user_sgpr_dispatch_id 0
		.amdhsa_user_sgpr_kernarg_preload_length 0
		.amdhsa_user_sgpr_kernarg_preload_offset 0
		.amdhsa_user_sgpr_private_segment_size 0
		.amdhsa_uses_dynamic_stack 0
		.amdhsa_enable_private_segment 0
		.amdhsa_system_sgpr_workgroup_id_x 1
		.amdhsa_system_sgpr_workgroup_id_y 0
		.amdhsa_system_sgpr_workgroup_id_z 0
		.amdhsa_system_sgpr_workgroup_info 0
		.amdhsa_system_vgpr_workitem_id 1
		.amdhsa_next_free_vgpr 26
		.amdhsa_next_free_sgpr 34
		.amdhsa_accum_offset 28
		.amdhsa_reserve_vcc 1
		.amdhsa_float_round_mode_32 0
		.amdhsa_float_round_mode_16_64 0
		.amdhsa_float_denorm_mode_32 3
		.amdhsa_float_denorm_mode_16_64 3
		.amdhsa_dx10_clamp 1
		.amdhsa_ieee_mode 1
		.amdhsa_fp16_overflow 0
		.amdhsa_tg_split 0
		.amdhsa_exception_fp_ieee_invalid_op 0
		.amdhsa_exception_fp_denorm_src 0
		.amdhsa_exception_fp_ieee_div_zero 0
		.amdhsa_exception_fp_ieee_overflow 0
		.amdhsa_exception_fp_ieee_underflow 0
		.amdhsa_exception_fp_ieee_inexact 0
		.amdhsa_exception_int_div_zero 0
	.end_amdhsa_kernel
	.section	.text._ZN2at6native32tensor_kernel_scan_innermost_dimIhSt4plusIhEEEvPT_PKS4_jjjS4_T0_,"axG",@progbits,_ZN2at6native32tensor_kernel_scan_innermost_dimIhSt4plusIhEEEvPT_PKS4_jjjS4_T0_,comdat
.Lfunc_end8:
	.size	_ZN2at6native32tensor_kernel_scan_innermost_dimIhSt4plusIhEEEvPT_PKS4_jjjS4_T0_, .Lfunc_end8-_ZN2at6native32tensor_kernel_scan_innermost_dimIhSt4plusIhEEEvPT_PKS4_jjjS4_T0_
                                        ; -- End function
	.section	.AMDGPU.csdata,"",@progbits
; Kernel info:
; codeLenInByte = 1572
; NumSgprs: 40
; NumVgprs: 26
; NumAgprs: 0
; TotalNumVgprs: 26
; ScratchSize: 0
; MemoryBound: 0
; FloatMode: 240
; IeeeMode: 1
; LDSByteSize: 0 bytes/workgroup (compile time only)
; SGPRBlocks: 4
; VGPRBlocks: 3
; NumSGPRsForWavesPerEU: 40
; NumVGPRsForWavesPerEU: 26
; AccumOffset: 28
; Occupancy: 8
; WaveLimiterHint : 0
; COMPUTE_PGM_RSRC2:SCRATCH_EN: 0
; COMPUTE_PGM_RSRC2:USER_SGPR: 2
; COMPUTE_PGM_RSRC2:TRAP_HANDLER: 0
; COMPUTE_PGM_RSRC2:TGID_X_EN: 1
; COMPUTE_PGM_RSRC2:TGID_Y_EN: 0
; COMPUTE_PGM_RSRC2:TGID_Z_EN: 0
; COMPUTE_PGM_RSRC2:TIDIG_COMP_CNT: 1
; COMPUTE_PGM_RSRC3_GFX90A:ACCUM_OFFSET: 6
; COMPUTE_PGM_RSRC3_GFX90A:TG_SPLIT: 0
	.section	.text._ZN2at6native28tensor_kernel_scan_outer_dimIhjSt4plusIhEEEvPT_PKS4_jjjS4_T1_,"axG",@progbits,_ZN2at6native28tensor_kernel_scan_outer_dimIhjSt4plusIhEEEvPT_PKS4_jjjS4_T1_,comdat
	.protected	_ZN2at6native28tensor_kernel_scan_outer_dimIhjSt4plusIhEEEvPT_PKS4_jjjS4_T1_ ; -- Begin function _ZN2at6native28tensor_kernel_scan_outer_dimIhjSt4plusIhEEEvPT_PKS4_jjjS4_T1_
	.globl	_ZN2at6native28tensor_kernel_scan_outer_dimIhjSt4plusIhEEEvPT_PKS4_jjjS4_T1_
	.p2align	8
	.type	_ZN2at6native28tensor_kernel_scan_outer_dimIhjSt4plusIhEEEvPT_PKS4_jjjS4_T1_,@function
_ZN2at6native28tensor_kernel_scan_outer_dimIhjSt4plusIhEEEvPT_PKS4_jjjS4_T1_: ; @_ZN2at6native28tensor_kernel_scan_outer_dimIhjSt4plusIhEEEvPT_PKS4_jjjS4_T1_
; %bb.0:
	s_load_dwordx4 s[8:11], s[0:1], 0x10
	s_waitcnt lgkmcnt(0)
	s_cmp_ge_u32 s2, s8
	s_cbranch_scc1 .LBB9_9
; %bb.1:
	s_load_dword s4, s[0:1], 0x2c
	s_load_dwordx4 s[12:15], s[0:1], 0x0
	s_load_dword s24, s[0:1], 0x20
	s_add_u32 s6, s0, 32
	s_addc_u32 s7, s1, 0
	s_waitcnt lgkmcnt(0)
	s_and_b32 s25, s4, 0xffff
	s_mul_i32 s3, s3, s25
	s_cmp_lg_u32 s10, 0
	v_add_u32_e32 v4, s3, v0
	s_mul_i32 s3, s2, s10
	s_cselect_b64 s[4:5], -1, 0
	s_mov_b32 s17, 0
	s_mul_i32 s16, s3, s9
	s_mul_i32 s3, s24, s10
	v_cndmask_b32_e64 v0, 0, 1, s[4:5]
	v_cmp_gt_u32_e64 s[0:1], s9, v4
	s_mov_b32 s18, s9
	s_mov_b32 s19, s17
	s_mul_i32 s3, s3, s9
	v_cmp_ne_u32_e64 s[4:5], 1, v0
	v_mov_b32_e32 v1, 0
	s_branch .LBB9_3
.LBB9_2:                                ;   in Loop: Header=BB9_3 Depth=1
	s_or_b64 exec, exec, s[20:21]
	s_add_i32 s2, s24, s2
	s_add_i32 s16, s16, s3
	s_cmp_ge_u32 s2, s8
	s_cbranch_scc1 .LBB9_9
.LBB9_3:                                ; =>This Loop Header: Depth=1
                                        ;     Child Loop BB9_6 Depth 2
                                        ;       Child Loop BB9_8 Depth 3
	s_and_saveexec_b64 s[20:21], s[0:1]
	s_cbranch_execz .LBB9_2
; %bb.4:                                ;   in Loop: Header=BB9_3 Depth=1
	s_load_dword s26, s[6:7], 0x4
	s_mov_b64 s[22:23], 0
	v_mov_b32_e32 v0, v4
	s_waitcnt lgkmcnt(0)
	s_mul_i32 s26, s26, s25
	s_branch .LBB9_6
.LBB9_5:                                ;   in Loop: Header=BB9_6 Depth=2
	v_add_u32_e32 v0, s26, v0
	v_cmp_le_u32_e32 vcc, s9, v0
	s_or_b64 s[22:23], vcc, s[22:23]
	s_andn2_b64 exec, exec, s[22:23]
	s_cbranch_execz .LBB9_2
.LBB9_6:                                ;   Parent Loop BB9_3 Depth=1
                                        ; =>  This Loop Header: Depth=2
                                        ;       Child Loop BB9_8 Depth 3
	s_and_b64 vcc, exec, s[4:5]
	s_cbranch_vccnz .LBB9_5
; %bb.7:                                ;   in Loop: Header=BB9_6 Depth=2
	v_lshl_add_u64 v[2:3], s[16:17], 0, v[0:1]
	v_mov_b32_e32 v5, s11
	s_mov_b32 s27, s10
.LBB9_8:                                ;   Parent Loop BB9_3 Depth=1
                                        ;     Parent Loop BB9_6 Depth=2
                                        ; =>    This Inner Loop Header: Depth=3
	v_lshl_add_u64 v[6:7], s[14:15], 0, v[2:3]
	global_load_ubyte v8, v[6:7], off
	s_add_i32 s27, s27, -1
	v_lshl_add_u64 v[6:7], s[12:13], 0, v[2:3]
	v_lshl_add_u64 v[2:3], v[2:3], 0, s[18:19]
	s_cmp_eq_u32 s27, 0
	s_waitcnt vmcnt(0)
	v_add_u16_e32 v5, v8, v5
	global_store_byte v[6:7], v5, off
	s_cbranch_scc0 .LBB9_8
	s_branch .LBB9_5
.LBB9_9:
	s_endpgm
	.section	.rodata,"a",@progbits
	.p2align	6, 0x0
	.amdhsa_kernel _ZN2at6native28tensor_kernel_scan_outer_dimIhjSt4plusIhEEEvPT_PKS4_jjjS4_T1_
		.amdhsa_group_segment_fixed_size 0
		.amdhsa_private_segment_fixed_size 0
		.amdhsa_kernarg_size 288
		.amdhsa_user_sgpr_count 2
		.amdhsa_user_sgpr_dispatch_ptr 0
		.amdhsa_user_sgpr_queue_ptr 0
		.amdhsa_user_sgpr_kernarg_segment_ptr 1
		.amdhsa_user_sgpr_dispatch_id 0
		.amdhsa_user_sgpr_kernarg_preload_length 0
		.amdhsa_user_sgpr_kernarg_preload_offset 0
		.amdhsa_user_sgpr_private_segment_size 0
		.amdhsa_uses_dynamic_stack 0
		.amdhsa_enable_private_segment 0
		.amdhsa_system_sgpr_workgroup_id_x 1
		.amdhsa_system_sgpr_workgroup_id_y 1
		.amdhsa_system_sgpr_workgroup_id_z 0
		.amdhsa_system_sgpr_workgroup_info 0
		.amdhsa_system_vgpr_workitem_id 0
		.amdhsa_next_free_vgpr 9
		.amdhsa_next_free_sgpr 28
		.amdhsa_accum_offset 12
		.amdhsa_reserve_vcc 1
		.amdhsa_float_round_mode_32 0
		.amdhsa_float_round_mode_16_64 0
		.amdhsa_float_denorm_mode_32 3
		.amdhsa_float_denorm_mode_16_64 3
		.amdhsa_dx10_clamp 1
		.amdhsa_ieee_mode 1
		.amdhsa_fp16_overflow 0
		.amdhsa_tg_split 0
		.amdhsa_exception_fp_ieee_invalid_op 0
		.amdhsa_exception_fp_denorm_src 0
		.amdhsa_exception_fp_ieee_div_zero 0
		.amdhsa_exception_fp_ieee_overflow 0
		.amdhsa_exception_fp_ieee_underflow 0
		.amdhsa_exception_fp_ieee_inexact 0
		.amdhsa_exception_int_div_zero 0
	.end_amdhsa_kernel
	.section	.text._ZN2at6native28tensor_kernel_scan_outer_dimIhjSt4plusIhEEEvPT_PKS4_jjjS4_T1_,"axG",@progbits,_ZN2at6native28tensor_kernel_scan_outer_dimIhjSt4plusIhEEEvPT_PKS4_jjjS4_T1_,comdat
.Lfunc_end9:
	.size	_ZN2at6native28tensor_kernel_scan_outer_dimIhjSt4plusIhEEEvPT_PKS4_jjjS4_T1_, .Lfunc_end9-_ZN2at6native28tensor_kernel_scan_outer_dimIhjSt4plusIhEEEvPT_PKS4_jjjS4_T1_
                                        ; -- End function
	.section	.AMDGPU.csdata,"",@progbits
; Kernel info:
; codeLenInByte = 308
; NumSgprs: 34
; NumVgprs: 9
; NumAgprs: 0
; TotalNumVgprs: 9
; ScratchSize: 0
; MemoryBound: 0
; FloatMode: 240
; IeeeMode: 1
; LDSByteSize: 0 bytes/workgroup (compile time only)
; SGPRBlocks: 4
; VGPRBlocks: 1
; NumSGPRsForWavesPerEU: 34
; NumVGPRsForWavesPerEU: 9
; AccumOffset: 12
; Occupancy: 8
; WaveLimiterHint : 0
; COMPUTE_PGM_RSRC2:SCRATCH_EN: 0
; COMPUTE_PGM_RSRC2:USER_SGPR: 2
; COMPUTE_PGM_RSRC2:TRAP_HANDLER: 0
; COMPUTE_PGM_RSRC2:TGID_X_EN: 1
; COMPUTE_PGM_RSRC2:TGID_Y_EN: 1
; COMPUTE_PGM_RSRC2:TGID_Z_EN: 0
; COMPUTE_PGM_RSRC2:TIDIG_COMP_CNT: 0
; COMPUTE_PGM_RSRC3_GFX90A:ACCUM_OFFSET: 2
; COMPUTE_PGM_RSRC3_GFX90A:TG_SPLIT: 0
	.section	.text._ZN2at6native28tensor_kernel_scan_outer_dimIhmSt4plusIhEEEvPT_PKS4_jjjS4_T1_,"axG",@progbits,_ZN2at6native28tensor_kernel_scan_outer_dimIhmSt4plusIhEEEvPT_PKS4_jjjS4_T1_,comdat
	.protected	_ZN2at6native28tensor_kernel_scan_outer_dimIhmSt4plusIhEEEvPT_PKS4_jjjS4_T1_ ; -- Begin function _ZN2at6native28tensor_kernel_scan_outer_dimIhmSt4plusIhEEEvPT_PKS4_jjjS4_T1_
	.globl	_ZN2at6native28tensor_kernel_scan_outer_dimIhmSt4plusIhEEEvPT_PKS4_jjjS4_T1_
	.p2align	8
	.type	_ZN2at6native28tensor_kernel_scan_outer_dimIhmSt4plusIhEEEvPT_PKS4_jjjS4_T1_,@function
_ZN2at6native28tensor_kernel_scan_outer_dimIhmSt4plusIhEEEvPT_PKS4_jjjS4_T1_: ; @_ZN2at6native28tensor_kernel_scan_outer_dimIhmSt4plusIhEEEvPT_PKS4_jjjS4_T1_
; %bb.0:
	s_load_dwordx4 s[8:11], s[0:1], 0x10
	s_waitcnt lgkmcnt(0)
	s_cmp_ge_u32 s2, s8
	s_cbranch_scc1 .LBB10_9
; %bb.1:
	s_load_dword s4, s[0:1], 0x2c
	s_load_dwordx4 s[12:15], s[0:1], 0x0
	s_load_dword s24, s[0:1], 0x20
	s_add_u32 s6, s0, 32
	s_addc_u32 s7, s1, 0
	s_waitcnt lgkmcnt(0)
	s_and_b32 s25, s4, 0xffff
	s_cmp_lg_u32 s10, 0
	s_mul_i32 s3, s3, s25
	s_cselect_b64 s[4:5], -1, 0
	v_add_u32_e32 v4, s3, v0
	v_cndmask_b32_e64 v0, 0, 1, s[4:5]
	v_cmp_gt_u32_e64 s[0:1], s9, v4
	s_mov_b32 s17, 0
	s_mov_b32 s16, s9
	s_mul_hi_u32 s3, s10, s9
	s_mul_i32 s26, s10, s9
	v_cmp_ne_u32_e64 s[4:5], 1, v0
	v_mov_b32_e32 v1, 0
	s_branch .LBB10_3
.LBB10_2:                               ;   in Loop: Header=BB10_3 Depth=1
	s_or_b64 exec, exec, s[18:19]
	s_add_i32 s2, s2, s24
	s_cmp_ge_u32 s2, s8
	s_cbranch_scc1 .LBB10_9
.LBB10_3:                               ; =>This Loop Header: Depth=1
                                        ;     Child Loop BB10_6 Depth 2
                                        ;       Child Loop BB10_8 Depth 3
	s_and_saveexec_b64 s[18:19], s[0:1]
	s_cbranch_execz .LBB10_2
; %bb.4:                                ;   in Loop: Header=BB10_3 Depth=1
	s_load_dword s27, s[6:7], 0x4
	s_mul_i32 s21, s3, s2
	s_mul_hi_u32 s22, s26, s2
	s_mul_i32 s20, s26, s2
	s_add_i32 s21, s22, s21
	s_waitcnt lgkmcnt(0)
	s_mul_i32 s27, s27, s25
	s_mov_b64 s[22:23], 0
	v_mov_b32_e32 v0, v4
	s_branch .LBB10_6
.LBB10_5:                               ;   in Loop: Header=BB10_6 Depth=2
	v_add_u32_e32 v0, s27, v0
	v_cmp_le_u32_e32 vcc, s9, v0
	s_or_b64 s[22:23], vcc, s[22:23]
	s_andn2_b64 exec, exec, s[22:23]
	s_cbranch_execz .LBB10_2
.LBB10_6:                               ;   Parent Loop BB10_3 Depth=1
                                        ; =>  This Loop Header: Depth=2
                                        ;       Child Loop BB10_8 Depth 3
	s_and_b64 vcc, exec, s[4:5]
	s_cbranch_vccnz .LBB10_5
; %bb.7:                                ;   in Loop: Header=BB10_6 Depth=2
	v_lshl_add_u64 v[2:3], s[20:21], 0, v[0:1]
	v_mov_b32_e32 v5, s11
	s_mov_b32 s28, s10
.LBB10_8:                               ;   Parent Loop BB10_3 Depth=1
                                        ;     Parent Loop BB10_6 Depth=2
                                        ; =>    This Inner Loop Header: Depth=3
	v_lshl_add_u64 v[6:7], s[14:15], 0, v[2:3]
	global_load_ubyte v8, v[6:7], off
	s_add_i32 s28, s28, -1
	v_lshl_add_u64 v[6:7], s[12:13], 0, v[2:3]
	v_lshl_add_u64 v[2:3], v[2:3], 0, s[16:17]
	s_cmp_eq_u32 s28, 0
	s_waitcnt vmcnt(0)
	v_add_u16_e32 v5, v8, v5
	global_store_byte v[6:7], v5, off
	s_cbranch_scc0 .LBB10_8
	s_branch .LBB10_5
.LBB10_9:
	s_endpgm
	.section	.rodata,"a",@progbits
	.p2align	6, 0x0
	.amdhsa_kernel _ZN2at6native28tensor_kernel_scan_outer_dimIhmSt4plusIhEEEvPT_PKS4_jjjS4_T1_
		.amdhsa_group_segment_fixed_size 0
		.amdhsa_private_segment_fixed_size 0
		.amdhsa_kernarg_size 288
		.amdhsa_user_sgpr_count 2
		.amdhsa_user_sgpr_dispatch_ptr 0
		.amdhsa_user_sgpr_queue_ptr 0
		.amdhsa_user_sgpr_kernarg_segment_ptr 1
		.amdhsa_user_sgpr_dispatch_id 0
		.amdhsa_user_sgpr_kernarg_preload_length 0
		.amdhsa_user_sgpr_kernarg_preload_offset 0
		.amdhsa_user_sgpr_private_segment_size 0
		.amdhsa_uses_dynamic_stack 0
		.amdhsa_enable_private_segment 0
		.amdhsa_system_sgpr_workgroup_id_x 1
		.amdhsa_system_sgpr_workgroup_id_y 1
		.amdhsa_system_sgpr_workgroup_id_z 0
		.amdhsa_system_sgpr_workgroup_info 0
		.amdhsa_system_vgpr_workitem_id 0
		.amdhsa_next_free_vgpr 9
		.amdhsa_next_free_sgpr 29
		.amdhsa_accum_offset 12
		.amdhsa_reserve_vcc 1
		.amdhsa_float_round_mode_32 0
		.amdhsa_float_round_mode_16_64 0
		.amdhsa_float_denorm_mode_32 3
		.amdhsa_float_denorm_mode_16_64 3
		.amdhsa_dx10_clamp 1
		.amdhsa_ieee_mode 1
		.amdhsa_fp16_overflow 0
		.amdhsa_tg_split 0
		.amdhsa_exception_fp_ieee_invalid_op 0
		.amdhsa_exception_fp_denorm_src 0
		.amdhsa_exception_fp_ieee_div_zero 0
		.amdhsa_exception_fp_ieee_overflow 0
		.amdhsa_exception_fp_ieee_underflow 0
		.amdhsa_exception_fp_ieee_inexact 0
		.amdhsa_exception_int_div_zero 0
	.end_amdhsa_kernel
	.section	.text._ZN2at6native28tensor_kernel_scan_outer_dimIhmSt4plusIhEEEvPT_PKS4_jjjS4_T1_,"axG",@progbits,_ZN2at6native28tensor_kernel_scan_outer_dimIhmSt4plusIhEEEvPT_PKS4_jjjS4_T1_,comdat
.Lfunc_end10:
	.size	_ZN2at6native28tensor_kernel_scan_outer_dimIhmSt4plusIhEEEvPT_PKS4_jjjS4_T1_, .Lfunc_end10-_ZN2at6native28tensor_kernel_scan_outer_dimIhmSt4plusIhEEEvPT_PKS4_jjjS4_T1_
                                        ; -- End function
	.section	.AMDGPU.csdata,"",@progbits
; Kernel info:
; codeLenInByte = 308
; NumSgprs: 35
; NumVgprs: 9
; NumAgprs: 0
; TotalNumVgprs: 9
; ScratchSize: 0
; MemoryBound: 0
; FloatMode: 240
; IeeeMode: 1
; LDSByteSize: 0 bytes/workgroup (compile time only)
; SGPRBlocks: 4
; VGPRBlocks: 1
; NumSGPRsForWavesPerEU: 35
; NumVGPRsForWavesPerEU: 9
; AccumOffset: 12
; Occupancy: 8
; WaveLimiterHint : 0
; COMPUTE_PGM_RSRC2:SCRATCH_EN: 0
; COMPUTE_PGM_RSRC2:USER_SGPR: 2
; COMPUTE_PGM_RSRC2:TRAP_HANDLER: 0
; COMPUTE_PGM_RSRC2:TGID_X_EN: 1
; COMPUTE_PGM_RSRC2:TGID_Y_EN: 1
; COMPUTE_PGM_RSRC2:TGID_Z_EN: 0
; COMPUTE_PGM_RSRC2:TIDIG_COMP_CNT: 0
; COMPUTE_PGM_RSRC3_GFX90A:ACCUM_OFFSET: 2
; COMPUTE_PGM_RSRC3_GFX90A:TG_SPLIT: 0
	.section	.text._ZN2at4cuda3cub15calc_block_sumsILi512ELi16ELb0EaaEEvPKT2_PT3_li,"axG",@progbits,_ZN2at4cuda3cub15calc_block_sumsILi512ELi16ELb0EaaEEvPKT2_PT3_li,comdat
	.protected	_ZN2at4cuda3cub15calc_block_sumsILi512ELi16ELb0EaaEEvPKT2_PT3_li ; -- Begin function _ZN2at4cuda3cub15calc_block_sumsILi512ELi16ELb0EaaEEvPKT2_PT3_li
	.globl	_ZN2at4cuda3cub15calc_block_sumsILi512ELi16ELb0EaaEEvPKT2_PT3_li
	.p2align	8
	.type	_ZN2at4cuda3cub15calc_block_sumsILi512ELi16ELb0EaaEEvPKT2_PT3_li,@function
_ZN2at4cuda3cub15calc_block_sumsILi512ELi16ELb0EaaEEvPKT2_PT3_li: ; @_ZN2at4cuda3cub15calc_block_sumsILi512ELi16ELb0EaaEEvPKT2_PT3_li
; %bb.0:
	s_load_dword s3, s[0:1], 0x18
	s_load_dwordx2 s[8:9], s[0:1], 0x10
	s_waitcnt lgkmcnt(0)
	s_lshl_b32 s4, s3, 13
	s_ashr_i32 s5, s4, 31
	s_mul_hi_u32 s6, s4, s2
	s_mul_i32 s5, s5, s2
	s_add_i32 s10, s6, s5
	s_mul_i32 s11, s4, s2
	s_sub_u32 s12, s8, s11
	s_subb_u32 s13, s9, s10
	v_cmp_lt_i64_e64 s[4:5], s[12:13], 1
	s_and_b64 vcc, exec, s[4:5]
	s_cbranch_vccnz .LBB11_54
; %bb.1:
	s_load_dwordx4 s[4:7], s[0:1], 0x0
	s_cmp_gt_i32 s3, 0
	s_mov_b32 s0, 0
	s_cbranch_scc1 .LBB11_3
; %bb.2:
	s_mov_b64 s[14:15], 0
	v_mov_b32_e32 v16, s0
	s_cbranch_execz .LBB11_4
	s_branch .LBB11_52
.LBB11_3:
	s_mov_b64 s[14:15], -1
                                        ; implicit-def: $sgpr0
	v_mov_b32_e32 v16, s0
.LBB11_4:
	s_waitcnt lgkmcnt(0)
	s_add_u32 s4, s4, s11
	s_mul_i32 s9, s2, s3
	v_mbcnt_lo_u32_b32 v2, -1, 0
	s_addc_u32 s5, s5, s10
	v_mov_b32_e32 v3, 0
	s_lshl_b32 s9, s9, 13
	v_mbcnt_hi_u32_b32 v29, -1, v2
	v_bfrev_b32_e32 v2, 0.5
	v_mov_b32_e32 v1, v3
	v_add_u32_e32 v12, 0x200, v0
	v_or_b32_e32 v13, 0x400, v0
	v_add_u32_e32 v14, 0x600, v0
	v_or_b32_e32 v15, 0x800, v0
	;; [unrolled: 2-line block ×7, first 2 shown]
	v_add_u32_e32 v27, 0x1e00, v0
	v_lshrrev_b32_e32 v28, 6, v0
	v_cmp_gt_u32_e64 s[0:1], 64, v0
	s_sub_i32 s20, s8, s9
	s_mov_b32 s8, 0
	s_mov_b64 s[14:15], -1
	v_mov_b64_e32 v[8:9], 0x2000
	s_mov_b32 s16, 0x7060004
	s_mov_b32 s17, 0x7000504
	;; [unrolled: 1-line block ×4, first 2 shown]
	v_lshl_or_b32 v30, v29, 2, v2
	v_mov_b32_e32 v16, 0
	s_mov_b32 s21, 0
	s_branch .LBB11_6
.LBB11_5:                               ;   in Loop: Header=BB11_6 Depth=1
	s_add_u32 s4, s4, 0x2000
	s_addc_u32 s5, s5, 0
	s_add_u32 s12, s12, 0xffffe000
	s_addc_u32 s13, s13, -1
	s_add_i32 s21, s21, 1
	s_cmp_lt_i32 s21, s3
	s_cselect_b64 s[14:15], -1, 0
	s_addk_i32 s20, 0xe000
	s_cmp_eq_u32 s3, s21
	s_cselect_b64 s[10:11], -1, 0
	s_barrier
	s_andn2_b64 vcc, exec, s[10:11]
	s_cbranch_vccz .LBB11_52
.LBB11_6:                               ; =>This Inner Loop Header: Depth=1
	v_cmp_lt_i64_e32 vcc, s[12:13], v[8:9]
	v_lshl_add_u64 v[10:11], s[4:5], 0, v[0:1]
	s_mov_b64 s[10:11], -1
                                        ; implicit-def: $vgpr2
	s_cbranch_vccz .LBB11_29
; %bb.7:                                ;   in Loop: Header=BB11_6 Depth=1
	s_mov_b32 s9, s8
	s_mov_b32 s10, s8
	;; [unrolled: 1-line block ×3, first 2 shown]
	v_mov_b64_e32 v[4:5], s[8:9]
	v_cmp_gt_u32_e32 vcc, s20, v0
	v_mov_b64_e32 v[6:7], s[10:11]
	s_and_saveexec_b64 s[10:11], vcc
	s_cbranch_execnz .LBB11_37
; %bb.8:                                ;   in Loop: Header=BB11_6 Depth=1
	s_or_b64 exec, exec, s[10:11]
	v_cmp_gt_u32_e32 vcc, s20, v12
	s_and_saveexec_b64 s[10:11], vcc
	s_cbranch_execnz .LBB11_38
.LBB11_9:                               ;   in Loop: Header=BB11_6 Depth=1
	s_or_b64 exec, exec, s[10:11]
	v_cmp_gt_u32_e32 vcc, s20, v13
	s_and_saveexec_b64 s[10:11], vcc
	s_cbranch_execnz .LBB11_39
.LBB11_10:                              ;   in Loop: Header=BB11_6 Depth=1
	s_or_b64 exec, exec, s[10:11]
	v_cmp_gt_u32_e32 vcc, s20, v14
	s_and_saveexec_b64 s[10:11], vcc
	s_cbranch_execnz .LBB11_40
.LBB11_11:                              ;   in Loop: Header=BB11_6 Depth=1
	s_or_b64 exec, exec, s[10:11]
	v_cmp_gt_u32_e32 vcc, s20, v15
	s_and_saveexec_b64 s[10:11], vcc
	s_cbranch_execnz .LBB11_41
.LBB11_12:                              ;   in Loop: Header=BB11_6 Depth=1
	s_or_b64 exec, exec, s[10:11]
	v_cmp_gt_u32_e32 vcc, s20, v17
	s_and_saveexec_b64 s[10:11], vcc
	s_cbranch_execnz .LBB11_42
.LBB11_13:                              ;   in Loop: Header=BB11_6 Depth=1
	s_or_b64 exec, exec, s[10:11]
	v_cmp_gt_u32_e32 vcc, s20, v18
	s_and_saveexec_b64 s[10:11], vcc
	s_cbranch_execnz .LBB11_43
.LBB11_14:                              ;   in Loop: Header=BB11_6 Depth=1
	s_or_b64 exec, exec, s[10:11]
	v_cmp_gt_u32_e32 vcc, s20, v19
	s_and_saveexec_b64 s[10:11], vcc
	s_cbranch_execnz .LBB11_44
.LBB11_15:                              ;   in Loop: Header=BB11_6 Depth=1
	s_or_b64 exec, exec, s[10:11]
	v_cmp_gt_u32_e32 vcc, s20, v20
	s_and_saveexec_b64 s[10:11], vcc
	s_cbranch_execnz .LBB11_45
.LBB11_16:                              ;   in Loop: Header=BB11_6 Depth=1
	s_or_b64 exec, exec, s[10:11]
	v_cmp_gt_u32_e32 vcc, s20, v21
	s_and_saveexec_b64 s[10:11], vcc
	s_cbranch_execnz .LBB11_46
.LBB11_17:                              ;   in Loop: Header=BB11_6 Depth=1
	s_or_b64 exec, exec, s[10:11]
	v_cmp_gt_u32_e32 vcc, s20, v22
	s_and_saveexec_b64 s[10:11], vcc
	s_cbranch_execnz .LBB11_47
.LBB11_18:                              ;   in Loop: Header=BB11_6 Depth=1
	s_or_b64 exec, exec, s[10:11]
	v_cmp_gt_u32_e32 vcc, s20, v23
	s_and_saveexec_b64 s[10:11], vcc
	s_cbranch_execnz .LBB11_48
.LBB11_19:                              ;   in Loop: Header=BB11_6 Depth=1
	s_or_b64 exec, exec, s[10:11]
	v_cmp_gt_u32_e32 vcc, s20, v24
	s_and_saveexec_b64 s[10:11], vcc
	s_cbranch_execnz .LBB11_49
.LBB11_20:                              ;   in Loop: Header=BB11_6 Depth=1
	s_or_b64 exec, exec, s[10:11]
	v_cmp_gt_u32_e32 vcc, s20, v25
	s_and_saveexec_b64 s[10:11], vcc
	s_cbranch_execnz .LBB11_50
.LBB11_21:                              ;   in Loop: Header=BB11_6 Depth=1
	s_or_b64 exec, exec, s[10:11]
	v_cmp_gt_u32_e32 vcc, s20, v26
	s_and_saveexec_b64 s[10:11], vcc
	s_cbranch_execnz .LBB11_51
.LBB11_22:                              ;   in Loop: Header=BB11_6 Depth=1
	s_or_b64 exec, exec, s[10:11]
	v_cmp_gt_u32_e32 vcc, s20, v27
	s_and_saveexec_b64 s[10:11], vcc
	s_cbranch_execz .LBB11_24
.LBB11_23:                              ;   in Loop: Header=BB11_6 Depth=1
	v_add_co_u32_e32 v32, vcc, 0x1000, v10
	s_nop 1
	v_addc_co_u32_e32 v33, vcc, 0, v11, vcc
	global_load_ubyte v2, v[32:33], off offset:3584
	s_waitcnt vmcnt(0)
	v_perm_b32 v7, v7, v2, s18
.LBB11_24:                              ;   in Loop: Header=BB11_6 Depth=1
	s_or_b64 exec, exec, s[10:11]
	v_lshrrev_b32_e32 v2, 8, v4
	v_add_u16_e32 v2, v2, v4
	v_add_u16_sdwa v2, v2, v4 dst_sel:DWORD dst_unused:UNUSED_PAD src0_sel:DWORD src1_sel:WORD_1
	v_lshrrev_b64 v[32:33], 24, v[4:5]
	v_add_u16_e32 v2, v2, v32
	v_add_u16_e32 v2, v2, v5
	v_lshrrev_b32_e32 v4, 8, v5
	v_add_u16_e32 v2, v2, v4
	v_add_u16_sdwa v2, v2, v5 dst_sel:DWORD dst_unused:UNUSED_PAD src0_sel:DWORD src1_sel:WORD_1
	v_add_u16_sdwa v2, v2, v5 dst_sel:DWORD dst_unused:UNUSED_PAD src0_sel:DWORD src1_sel:BYTE_3
	v_add_u16_e32 v2, v2, v6
	v_lshrrev_b32_e32 v4, 8, v6
	v_add_u16_e32 v2, v2, v4
	v_add_u16_sdwa v2, v2, v6 dst_sel:DWORD dst_unused:UNUSED_PAD src0_sel:DWORD src1_sel:WORD_1
	v_lshrrev_b64 v[4:5], 24, v[6:7]
	v_add_u16_e32 v2, v2, v4
	v_add_u16_e32 v2, v2, v7
	v_lshrrev_b32_e32 v4, 8, v7
	v_add_u16_e32 v2, v2, v4
	v_add_u16_sdwa v2, v2, v7 dst_sel:DWORD dst_unused:UNUSED_PAD src0_sel:DWORD src1_sel:WORD_1
	v_add_u16_sdwa v2, v2, v7 dst_sel:DWORD dst_unused:UNUSED_PAD src0_sel:DWORD src1_sel:BYTE_3
	v_and_b32_e32 v4, 0xff, v2
	v_cmp_eq_u32_e32 vcc, 0, v29
	s_nop 0
	v_mov_b32_dpp v4, v4 quad_perm:[1,0,3,2] row_mask:0xf bank_mask:0xf
	v_add_u16_e32 v2, v2, v4
	v_and_b32_e32 v4, 0xff, v2
	s_barrier
	s_nop 0
	v_mov_b32_dpp v4, v4 quad_perm:[2,3,0,1] row_mask:0xf bank_mask:0xf
	v_add_u16_e32 v2, v2, v4
	v_and_b32_e32 v4, 0xff, v2
	s_nop 1
	v_mov_b32_dpp v4, v4 row_ror:4 row_mask:0xf bank_mask:0xf
	v_add_u16_e32 v2, v2, v4
	v_and_b32_e32 v4, 0xff, v2
	s_nop 1
	v_mov_b32_dpp v4, v4 row_ror:8 row_mask:0xf bank_mask:0xf
	v_add_u16_e32 v2, v2, v4
	v_and_b32_e32 v4, 0xff, v2
	s_nop 1
	v_mov_b32_dpp v4, v4 row_bcast:15 row_mask:0xf bank_mask:0xf
	v_add_u16_e32 v2, v2, v4
	v_and_b32_e32 v4, 0xff, v2
	s_nop 1
	v_mov_b32_dpp v4, v4 row_bcast:31 row_mask:0xf bank_mask:0xf
	v_add_u16_e32 v2, v2, v4
	v_and_b32_e32 v2, 0xff, v2
	ds_bpermute_b32 v2, v30, v2
	s_and_saveexec_b64 s[10:11], vcc
	s_cbranch_execz .LBB11_26
; %bb.25:                               ;   in Loop: Header=BB11_6 Depth=1
	s_waitcnt lgkmcnt(0)
	ds_write_b8 v28, v2
.LBB11_26:                              ;   in Loop: Header=BB11_6 Depth=1
	s_or_b64 exec, exec, s[10:11]
	s_waitcnt lgkmcnt(0)
	s_barrier
	s_and_saveexec_b64 s[10:11], s[0:1]
	s_cbranch_execz .LBB11_28
; %bb.27:                               ;   in Loop: Header=BB11_6 Depth=1
	v_and_b32_e32 v2, 7, v29
	ds_read_u8 v4, v2
	v_cmp_ne_u32_e32 vcc, 7, v2
	s_waitcnt lgkmcnt(0)
	v_and_b32_e32 v6, 0xff, v4
	v_addc_co_u32_e32 v5, vcc, 0, v29, vcc
	v_lshlrev_b32_e32 v5, 2, v5
	ds_bpermute_b32 v5, v5, v6
	v_cmp_gt_u32_e32 vcc, 6, v2
	s_waitcnt lgkmcnt(0)
	v_add_u16_e32 v4, v4, v5
	v_cndmask_b32_e64 v6, 0, 1, vcc
	v_lshlrev_b32_e32 v6, 1, v6
	v_add_lshl_u32 v6, v6, v29, 2
	v_and_b32_e32 v5, 0xff, v4
	ds_bpermute_b32 v5, v6, v5
	v_cmp_gt_u32_e32 vcc, 4, v2
	s_waitcnt lgkmcnt(0)
	v_add_u16_e32 v4, v4, v5
	v_cndmask_b32_e64 v2, 0, 1, vcc
	v_lshlrev_b32_e32 v2, 2, v2
	v_and_b32_e32 v5, 0xff, v4
	v_add_lshl_u32 v2, v2, v29, 2
	ds_bpermute_b32 v2, v2, v5
	s_waitcnt lgkmcnt(0)
	v_add_u16_e32 v2, v4, v2
.LBB11_28:                              ;   in Loop: Header=BB11_6 Depth=1
	s_or_b64 exec, exec, s[10:11]
	s_mov_b64 s[10:11], 0
.LBB11_29:                              ;   in Loop: Header=BB11_6 Depth=1
	s_and_b64 vcc, exec, s[10:11]
	s_cbranch_vccz .LBB11_35
; %bb.30:                               ;   in Loop: Header=BB11_6 Depth=1
	global_load_ubyte v2, v[10:11], off
	global_load_ubyte v6, v[10:11], off offset:512
	global_load_ubyte v7, v[10:11], off offset:1024
	;; [unrolled: 1-line block ×7, first 2 shown]
	v_add_co_u32_e32 v4, vcc, 0x1000, v10
	s_waitcnt vmcnt(6)
	v_add_u16_e32 v2, v6, v2
	v_addc_co_u32_e32 v5, vcc, 0, v11, vcc
	global_load_ubyte v10, v[4:5], off
	global_load_ubyte v11, v[4:5], off offset:512
	global_load_ubyte v36, v[4:5], off offset:1024
	global_load_ubyte v37, v[4:5], off offset:1536
	global_load_ubyte v38, v[4:5], off offset:2048
	global_load_ubyte v39, v[4:5], off offset:2560
	global_load_ubyte v40, v[4:5], off offset:3072
	global_load_ubyte v41, v[4:5], off offset:3584
	s_waitcnt vmcnt(13)
	v_add_u16_e32 v2, v2, v7
	s_waitcnt vmcnt(12)
	v_add_u16_e32 v2, v2, v31
	;; [unrolled: 2-line block ×6, first 2 shown]
	v_cmp_eq_u32_e32 vcc, 0, v29
	s_barrier
	s_waitcnt vmcnt(7)
	v_add_u16_e32 v2, v2, v10
	s_waitcnt vmcnt(6)
	v_add_u16_e32 v2, v2, v11
	;; [unrolled: 2-line block ×8, first 2 shown]
	v_and_b32_e32 v4, 0xff, v2
	s_nop 1
	v_mov_b32_dpp v4, v4 quad_perm:[1,0,3,2] row_mask:0xf bank_mask:0xf
	v_add_u16_e32 v2, v2, v4
	v_and_b32_e32 v4, 0xff, v2
	s_nop 1
	v_mov_b32_dpp v4, v4 quad_perm:[2,3,0,1] row_mask:0xf bank_mask:0xf
	v_add_u16_e32 v2, v2, v4
	v_and_b32_e32 v4, 0xff, v2
	s_nop 1
	v_mov_b32_dpp v4, v4 row_ror:4 row_mask:0xf bank_mask:0xf
	v_add_u16_e32 v2, v2, v4
	v_and_b32_e32 v4, 0xff, v2
	s_nop 1
	v_mov_b32_dpp v4, v4 row_ror:8 row_mask:0xf bank_mask:0xf
	v_add_u16_e32 v2, v2, v4
	v_and_b32_e32 v4, 0xff, v2
	s_nop 1
	v_mov_b32_dpp v4, v4 row_bcast:15 row_mask:0xf bank_mask:0xf
	v_add_u16_e32 v2, v2, v4
	v_and_b32_e32 v4, 0xff, v2
	s_nop 1
	v_mov_b32_dpp v4, v4 row_bcast:31 row_mask:0xf bank_mask:0xf
	v_add_u16_e32 v2, v2, v4
	v_and_b32_e32 v2, 0xff, v2
	ds_bpermute_b32 v2, v30, v2
	s_and_saveexec_b64 s[10:11], vcc
	s_cbranch_execz .LBB11_32
; %bb.31:                               ;   in Loop: Header=BB11_6 Depth=1
	s_waitcnt lgkmcnt(0)
	ds_write_b8 v28, v2
.LBB11_32:                              ;   in Loop: Header=BB11_6 Depth=1
	s_or_b64 exec, exec, s[10:11]
	s_waitcnt lgkmcnt(0)
	s_barrier
	s_and_saveexec_b64 s[10:11], s[0:1]
	s_cbranch_execz .LBB11_34
; %bb.33:                               ;   in Loop: Header=BB11_6 Depth=1
	v_and_b32_e32 v2, 7, v29
	ds_read_u8 v4, v2
	v_cmp_ne_u32_e32 vcc, 7, v2
	s_waitcnt lgkmcnt(0)
	v_and_b32_e32 v6, 0xff, v4
	v_addc_co_u32_e32 v5, vcc, 0, v29, vcc
	v_lshlrev_b32_e32 v5, 2, v5
	ds_bpermute_b32 v5, v5, v6
	v_cmp_gt_u32_e32 vcc, 6, v2
	s_waitcnt lgkmcnt(0)
	v_add_u16_e32 v4, v4, v5
	v_cndmask_b32_e64 v6, 0, 1, vcc
	v_lshlrev_b32_e32 v6, 1, v6
	v_add_lshl_u32 v6, v6, v29, 2
	v_and_b32_e32 v5, 0xff, v4
	ds_bpermute_b32 v5, v6, v5
	v_cmp_gt_u32_e32 vcc, 4, v2
	s_waitcnt lgkmcnt(0)
	v_add_u16_e32 v4, v4, v5
	v_cndmask_b32_e64 v2, 0, 1, vcc
	v_lshlrev_b32_e32 v2, 2, v2
	v_and_b32_e32 v5, 0xff, v4
	v_add_lshl_u32 v2, v2, v29, 2
	ds_bpermute_b32 v2, v2, v5
	s_waitcnt lgkmcnt(0)
	v_add_u16_e32 v2, v4, v2
.LBB11_34:                              ;   in Loop: Header=BB11_6 Depth=1
	s_or_b64 exec, exec, s[10:11]
.LBB11_35:                              ;   in Loop: Header=BB11_6 Depth=1
	v_mov_b64_e32 v[4:5], 0x2001
	v_cmp_lt_i64_e32 vcc, s[12:13], v[4:5]
	v_add_u16_e32 v16, v2, v16
	s_cbranch_vccz .LBB11_5
; %bb.36:
                                        ; implicit-def: $sgpr4_sgpr5
                                        ; implicit-def: $sgpr21
                                        ; implicit-def: $sgpr12_sgpr13
                                        ; implicit-def: $sgpr20
	s_branch .LBB11_52
.LBB11_37:                              ;   in Loop: Header=BB11_6 Depth=1
	global_load_ubyte v2, v[10:11], off
	v_mov_b32_e32 v4, v3
	v_mov_b32_e32 v5, v3
	s_waitcnt vmcnt(0)
	v_and_b32_e32 v2, 0xffff, v2
	v_mov_b64_e32 v[6:7], v[4:5]
	v_mov_b64_e32 v[4:5], v[2:3]
	s_or_b64 exec, exec, s[10:11]
	v_cmp_gt_u32_e32 vcc, s20, v12
	s_and_saveexec_b64 s[10:11], vcc
	s_cbranch_execz .LBB11_9
.LBB11_38:                              ;   in Loop: Header=BB11_6 Depth=1
	global_load_ubyte v2, v[10:11], off offset:512
	s_waitcnt vmcnt(0)
	v_perm_b32 v4, v4, v2, s16
	s_or_b64 exec, exec, s[10:11]
	v_cmp_gt_u32_e32 vcc, s20, v13
	s_and_saveexec_b64 s[10:11], vcc
	s_cbranch_execz .LBB11_10
.LBB11_39:                              ;   in Loop: Header=BB11_6 Depth=1
	global_load_ubyte v2, v[10:11], off offset:1024
	s_waitcnt vmcnt(0)
	v_perm_b32 v4, v4, v2, s17
	s_or_b64 exec, exec, s[10:11]
	v_cmp_gt_u32_e32 vcc, s20, v14
	s_and_saveexec_b64 s[10:11], vcc
	s_cbranch_execz .LBB11_11
.LBB11_40:                              ;   in Loop: Header=BB11_6 Depth=1
	global_load_ubyte v2, v[10:11], off offset:1536
	s_waitcnt vmcnt(0)
	v_perm_b32 v4, v4, v2, s18
	s_or_b64 exec, exec, s[10:11]
	v_cmp_gt_u32_e32 vcc, s20, v15
	s_and_saveexec_b64 s[10:11], vcc
	s_cbranch_execz .LBB11_12
.LBB11_41:                              ;   in Loop: Header=BB11_6 Depth=1
	global_load_ubyte v2, v[10:11], off offset:2048
	s_waitcnt vmcnt(0)
	v_perm_b32 v5, v2, v5, s19
	s_or_b64 exec, exec, s[10:11]
	v_cmp_gt_u32_e32 vcc, s20, v17
	s_and_saveexec_b64 s[10:11], vcc
	s_cbranch_execz .LBB11_13
.LBB11_42:                              ;   in Loop: Header=BB11_6 Depth=1
	global_load_ubyte v2, v[10:11], off offset:2560
	s_waitcnt vmcnt(0)
	v_perm_b32 v5, v5, v2, s16
	s_or_b64 exec, exec, s[10:11]
	v_cmp_gt_u32_e32 vcc, s20, v18
	s_and_saveexec_b64 s[10:11], vcc
	s_cbranch_execz .LBB11_14
.LBB11_43:                              ;   in Loop: Header=BB11_6 Depth=1
	global_load_ubyte v2, v[10:11], off offset:3072
	s_waitcnt vmcnt(0)
	v_perm_b32 v5, v5, v2, s17
	s_or_b64 exec, exec, s[10:11]
	v_cmp_gt_u32_e32 vcc, s20, v19
	s_and_saveexec_b64 s[10:11], vcc
	s_cbranch_execz .LBB11_15
.LBB11_44:                              ;   in Loop: Header=BB11_6 Depth=1
	global_load_ubyte v2, v[10:11], off offset:3584
	s_waitcnt vmcnt(0)
	v_perm_b32 v5, v5, v2, s18
	s_or_b64 exec, exec, s[10:11]
	v_cmp_gt_u32_e32 vcc, s20, v20
	s_and_saveexec_b64 s[10:11], vcc
	s_cbranch_execz .LBB11_16
.LBB11_45:                              ;   in Loop: Header=BB11_6 Depth=1
	v_add_co_u32_e32 v32, vcc, 0x1000, v10
	s_nop 1
	v_addc_co_u32_e32 v33, vcc, 0, v11, vcc
	global_load_ubyte v2, v[32:33], off
	s_waitcnt vmcnt(0)
	v_perm_b32 v6, v2, v6, s19
	s_or_b64 exec, exec, s[10:11]
	v_cmp_gt_u32_e32 vcc, s20, v21
	s_and_saveexec_b64 s[10:11], vcc
	s_cbranch_execz .LBB11_17
.LBB11_46:                              ;   in Loop: Header=BB11_6 Depth=1
	v_add_co_u32_e32 v32, vcc, 0x1000, v10
	s_nop 1
	v_addc_co_u32_e32 v33, vcc, 0, v11, vcc
	global_load_ubyte v2, v[32:33], off offset:512
	s_waitcnt vmcnt(0)
	v_perm_b32 v6, v6, v2, s16
	s_or_b64 exec, exec, s[10:11]
	v_cmp_gt_u32_e32 vcc, s20, v22
	s_and_saveexec_b64 s[10:11], vcc
	s_cbranch_execz .LBB11_18
.LBB11_47:                              ;   in Loop: Header=BB11_6 Depth=1
	v_add_co_u32_e32 v32, vcc, 0x1000, v10
	s_nop 1
	v_addc_co_u32_e32 v33, vcc, 0, v11, vcc
	global_load_ubyte v2, v[32:33], off offset:1024
	s_waitcnt vmcnt(0)
	v_perm_b32 v6, v6, v2, s17
	s_or_b64 exec, exec, s[10:11]
	v_cmp_gt_u32_e32 vcc, s20, v23
	s_and_saveexec_b64 s[10:11], vcc
	s_cbranch_execz .LBB11_19
.LBB11_48:                              ;   in Loop: Header=BB11_6 Depth=1
	v_add_co_u32_e32 v32, vcc, 0x1000, v10
	s_nop 1
	v_addc_co_u32_e32 v33, vcc, 0, v11, vcc
	global_load_ubyte v2, v[32:33], off offset:1536
	s_waitcnt vmcnt(0)
	v_perm_b32 v6, v6, v2, s18
	s_or_b64 exec, exec, s[10:11]
	v_cmp_gt_u32_e32 vcc, s20, v24
	s_and_saveexec_b64 s[10:11], vcc
	s_cbranch_execz .LBB11_20
.LBB11_49:                              ;   in Loop: Header=BB11_6 Depth=1
	v_add_co_u32_e32 v32, vcc, 0x1000, v10
	s_nop 1
	v_addc_co_u32_e32 v33, vcc, 0, v11, vcc
	global_load_ubyte v2, v[32:33], off offset:2048
	s_waitcnt vmcnt(0)
	v_perm_b32 v7, v2, v7, s19
	s_or_b64 exec, exec, s[10:11]
	v_cmp_gt_u32_e32 vcc, s20, v25
	s_and_saveexec_b64 s[10:11], vcc
	s_cbranch_execz .LBB11_21
.LBB11_50:                              ;   in Loop: Header=BB11_6 Depth=1
	v_add_co_u32_e32 v32, vcc, 0x1000, v10
	s_nop 1
	v_addc_co_u32_e32 v33, vcc, 0, v11, vcc
	global_load_ubyte v2, v[32:33], off offset:2560
	s_waitcnt vmcnt(0)
	v_perm_b32 v7, v7, v2, s16
	s_or_b64 exec, exec, s[10:11]
	v_cmp_gt_u32_e32 vcc, s20, v26
	s_and_saveexec_b64 s[10:11], vcc
	s_cbranch_execz .LBB11_22
.LBB11_51:                              ;   in Loop: Header=BB11_6 Depth=1
	v_add_co_u32_e32 v32, vcc, 0x1000, v10
	s_nop 1
	v_addc_co_u32_e32 v33, vcc, 0, v11, vcc
	global_load_ubyte v2, v[32:33], off offset:3072
	s_waitcnt vmcnt(0)
	v_perm_b32 v7, v7, v2, s17
	s_or_b64 exec, exec, s[10:11]
	v_cmp_gt_u32_e32 vcc, s20, v27
	s_and_saveexec_b64 s[10:11], vcc
	s_cbranch_execnz .LBB11_23
	s_branch .LBB11_24
.LBB11_52:
	v_cmp_eq_u32_e32 vcc, 0, v0
	s_xor_b64 s[0:1], s[14:15], -1
	s_and_b64 s[0:1], vcc, s[0:1]
	s_waitcnt lgkmcnt(0)
	s_and_saveexec_b64 s[4:5], s[0:1]
	s_cbranch_execz .LBB11_54
; %bb.53:
	s_add_u32 s0, s6, s2
	s_addc_u32 s1, s7, 0
	v_mov_b32_e32 v0, 0
	global_store_byte v0, v16, s[0:1]
.LBB11_54:
	s_endpgm
	.section	.rodata,"a",@progbits
	.p2align	6, 0x0
	.amdhsa_kernel _ZN2at4cuda3cub15calc_block_sumsILi512ELi16ELb0EaaEEvPKT2_PT3_li
		.amdhsa_group_segment_fixed_size 8
		.amdhsa_private_segment_fixed_size 0
		.amdhsa_kernarg_size 28
		.amdhsa_user_sgpr_count 2
		.amdhsa_user_sgpr_dispatch_ptr 0
		.amdhsa_user_sgpr_queue_ptr 0
		.amdhsa_user_sgpr_kernarg_segment_ptr 1
		.amdhsa_user_sgpr_dispatch_id 0
		.amdhsa_user_sgpr_kernarg_preload_length 0
		.amdhsa_user_sgpr_kernarg_preload_offset 0
		.amdhsa_user_sgpr_private_segment_size 0
		.amdhsa_uses_dynamic_stack 0
		.amdhsa_enable_private_segment 0
		.amdhsa_system_sgpr_workgroup_id_x 1
		.amdhsa_system_sgpr_workgroup_id_y 0
		.amdhsa_system_sgpr_workgroup_id_z 0
		.amdhsa_system_sgpr_workgroup_info 0
		.amdhsa_system_vgpr_workitem_id 0
		.amdhsa_next_free_vgpr 42
		.amdhsa_next_free_sgpr 22
		.amdhsa_accum_offset 44
		.amdhsa_reserve_vcc 1
		.amdhsa_float_round_mode_32 0
		.amdhsa_float_round_mode_16_64 0
		.amdhsa_float_denorm_mode_32 3
		.amdhsa_float_denorm_mode_16_64 3
		.amdhsa_dx10_clamp 1
		.amdhsa_ieee_mode 1
		.amdhsa_fp16_overflow 0
		.amdhsa_tg_split 0
		.amdhsa_exception_fp_ieee_invalid_op 0
		.amdhsa_exception_fp_denorm_src 0
		.amdhsa_exception_fp_ieee_div_zero 0
		.amdhsa_exception_fp_ieee_overflow 0
		.amdhsa_exception_fp_ieee_underflow 0
		.amdhsa_exception_fp_ieee_inexact 0
		.amdhsa_exception_int_div_zero 0
	.end_amdhsa_kernel
	.section	.text._ZN2at4cuda3cub15calc_block_sumsILi512ELi16ELb0EaaEEvPKT2_PT3_li,"axG",@progbits,_ZN2at4cuda3cub15calc_block_sumsILi512ELi16ELb0EaaEEvPKT2_PT3_li,comdat
.Lfunc_end11:
	.size	_ZN2at4cuda3cub15calc_block_sumsILi512ELi16ELb0EaaEEvPKT2_PT3_li, .Lfunc_end11-_ZN2at4cuda3cub15calc_block_sumsILi512ELi16ELb0EaaEEvPKT2_PT3_li
                                        ; -- End function
	.section	.AMDGPU.csdata,"",@progbits
; Kernel info:
; codeLenInByte = 2608
; NumSgprs: 28
; NumVgprs: 42
; NumAgprs: 0
; TotalNumVgprs: 42
; ScratchSize: 0
; MemoryBound: 0
; FloatMode: 240
; IeeeMode: 1
; LDSByteSize: 8 bytes/workgroup (compile time only)
; SGPRBlocks: 3
; VGPRBlocks: 5
; NumSGPRsForWavesPerEU: 28
; NumVGPRsForWavesPerEU: 42
; AccumOffset: 44
; Occupancy: 8
; WaveLimiterHint : 1
; COMPUTE_PGM_RSRC2:SCRATCH_EN: 0
; COMPUTE_PGM_RSRC2:USER_SGPR: 2
; COMPUTE_PGM_RSRC2:TRAP_HANDLER: 0
; COMPUTE_PGM_RSRC2:TGID_X_EN: 1
; COMPUTE_PGM_RSRC2:TGID_Y_EN: 0
; COMPUTE_PGM_RSRC2:TGID_Z_EN: 0
; COMPUTE_PGM_RSRC2:TIDIG_COMP_CNT: 0
; COMPUTE_PGM_RSRC3_GFX90A:ACCUM_OFFSET: 10
; COMPUTE_PGM_RSRC3_GFX90A:TG_SPLIT: 0
	.section	.text._ZN2at4cuda3cub17final_scan_kernelILi512ELi16EaEEvPKT1_PS3_S6_li,"axG",@progbits,_ZN2at4cuda3cub17final_scan_kernelILi512ELi16EaEEvPKT1_PS3_S6_li,comdat
	.protected	_ZN2at4cuda3cub17final_scan_kernelILi512ELi16EaEEvPKT1_PS3_S6_li ; -- Begin function _ZN2at4cuda3cub17final_scan_kernelILi512ELi16EaEEvPKT1_PS3_S6_li
	.globl	_ZN2at4cuda3cub17final_scan_kernelILi512ELi16EaEEvPKT1_PS3_S6_li
	.p2align	8
	.type	_ZN2at4cuda3cub17final_scan_kernelILi512ELi16EaEEvPKT1_PS3_S6_li,@function
_ZN2at4cuda3cub17final_scan_kernelILi512ELi16EaEEvPKT1_PS3_S6_li: ; @_ZN2at4cuda3cub17final_scan_kernelILi512ELi16EaEEvPKT1_PS3_S6_li
; %bb.0:
	s_load_dword s33, s[0:1], 0x20
	s_load_dwordx8 s[36:43], s[0:1], 0x0
	s_waitcnt lgkmcnt(0)
	s_lshl_b32 s3, s33, 13
	s_ashr_i32 s4, s3, 31
	s_mul_hi_u32 s5, s3, s2
	s_mul_i32 s4, s4, s2
	s_add_i32 s31, s5, s4
	s_mul_i32 s30, s3, s2
	s_sub_u32 s44, s42, s30
	s_subb_u32 s45, s43, s31
	v_cmp_lt_i64_e64 s[4:5], s[44:45], 1
	s_and_b64 vcc, exec, s[4:5]
	s_cbranch_vccnz .LBB12_98
; %bb.1:
	v_cmp_gt_u32_e32 vcc, s2, v0
	v_mov_b32_e32 v1, 0
	s_and_saveexec_b64 s[4:5], vcc
	s_cbranch_execz .LBB12_3
; %bb.2:
	global_load_ubyte v1, v0, s[40:41]
.LBB12_3:
	s_or_b64 exec, exec, s[4:5]
	s_load_dword s0, s[0:1], 0x34
	s_waitcnt lgkmcnt(0)
	s_and_b32 s3, s0, 0xffff
	v_add_u32_e32 v2, s3, v0
	v_cmp_gt_u32_e32 vcc, s2, v2
	s_and_saveexec_b64 s[0:1], vcc
	s_cbranch_execz .LBB12_7
; %bb.4:
	s_mov_b64 s[4:5], 0
.LBB12_5:                               ; =>This Inner Loop Header: Depth=1
	global_load_ubyte v3, v2, s[40:41]
	v_add_u32_e32 v2, s3, v2
	v_cmp_le_u32_e32 vcc, s2, v2
	s_or_b64 s[4:5], vcc, s[4:5]
	s_waitcnt vmcnt(0)
	v_add_u16_e32 v1, v3, v1
	s_andn2_b64 exec, exec, s[4:5]
	s_cbranch_execnz .LBB12_5
; %bb.6:
	s_or_b64 exec, exec, s[4:5]
.LBB12_7:
	s_or_b64 exec, exec, s[0:1]
	v_mbcnt_lo_u32_b32 v2, -1, 0
	v_mbcnt_hi_u32_b32 v8, -1, v2
	s_waitcnt vmcnt(0)
	v_and_b32_e32 v2, 0xff, v1
	v_cmp_eq_u32_e64 s[0:1], 0, v8
	s_nop 0
	v_mov_b32_dpp v2, v2 quad_perm:[1,0,3,2] row_mask:0xf bank_mask:0xf
	v_add_u16_e32 v1, v1, v2
	v_and_b32_e32 v2, 0xff, v1
	s_nop 1
	v_mov_b32_dpp v2, v2 quad_perm:[2,3,0,1] row_mask:0xf bank_mask:0xf
	v_add_u16_e32 v1, v1, v2
	v_and_b32_e32 v2, 0xff, v1
	s_nop 1
	v_mov_b32_dpp v2, v2 row_ror:4 row_mask:0xf bank_mask:0xf
	v_add_u16_e32 v1, v1, v2
	v_and_b32_e32 v2, 0xff, v1
	s_nop 1
	v_mov_b32_dpp v2, v2 row_ror:8 row_mask:0xf bank_mask:0xf
	v_add_u16_e32 v1, v1, v2
	v_and_b32_e32 v2, 0xff, v1
	s_nop 1
	v_mov_b32_dpp v2, v2 row_bcast:15 row_mask:0xf bank_mask:0xf
	v_add_u16_e32 v1, v1, v2
	v_and_b32_e32 v2, 0xff, v1
	s_nop 1
	v_mov_b32_dpp v2, v2 row_bcast:31 row_mask:0xf bank_mask:0xf
	v_add_u16_e32 v1, v1, v2
	v_bfrev_b32_e32 v2, 0.5
	v_and_b32_e32 v1, 0xff, v1
	v_lshl_or_b32 v2, v8, 2, v2
	ds_bpermute_b32 v20, v2, v1
	v_lshrrev_b32_e32 v1, 6, v0
	s_and_saveexec_b64 s[4:5], s[0:1]
	s_cbranch_execz .LBB12_9
; %bb.8:
	s_waitcnt lgkmcnt(0)
	ds_write_b8 v1, v20
.LBB12_9:
	s_or_b64 exec, exec, s[4:5]
	v_cmp_lt_u32_e64 s[34:35], 63, v0
	v_cmp_gt_u32_e64 s[4:5], 64, v0
	v_and_b32_e32 v4, 7, v8
	s_waitcnt lgkmcnt(0)
	s_barrier
	s_and_saveexec_b64 s[6:7], s[4:5]
	s_cbranch_execz .LBB12_11
; %bb.10:
	ds_read_u8 v2, v4
	v_cmp_ne_u32_e32 vcc, 7, v4
	s_waitcnt lgkmcnt(0)
	v_and_b32_e32 v5, 0xff, v2
	v_addc_co_u32_e32 v3, vcc, 0, v8, vcc
	v_lshlrev_b32_e32 v3, 2, v3
	ds_bpermute_b32 v3, v3, v5
	v_cmp_gt_u32_e32 vcc, 6, v4
	s_waitcnt lgkmcnt(0)
	v_add_u16_e32 v2, v2, v3
	v_cndmask_b32_e64 v5, 0, 1, vcc
	v_lshlrev_b32_e32 v5, 1, v5
	v_add_lshl_u32 v5, v5, v8, 2
	v_and_b32_e32 v3, 0xff, v2
	ds_bpermute_b32 v3, v5, v3
	v_cmp_gt_u32_e32 vcc, 4, v4
	s_waitcnt lgkmcnt(0)
	v_add_u16_e32 v2, v2, v3
	v_cndmask_b32_e64 v5, 0, 1, vcc
	v_lshlrev_b32_e32 v5, 2, v5
	v_and_b32_e32 v3, 0xff, v2
	v_add_lshl_u32 v5, v5, v8, 2
	ds_bpermute_b32 v3, v5, v3
	s_waitcnt lgkmcnt(0)
	v_add_u16_e32 v20, v2, v3
.LBB12_11:
	s_or_b64 exec, exec, s[6:7]
	s_cmp_lt_i32 s33, 1
	s_barrier
	s_cbranch_scc1 .LBB12_98
; %bb.12:
	v_lshlrev_b32_e32 v2, 4, v0
	v_and_b32_e32 v2, 0x3c00, v2
	v_or_b32_e32 v21, v8, v2
	v_add_u32_e32 v22, 64, v21
	v_lshrrev_b32_e32 v5, 5, v2
	v_add_u32_e32 v37, v5, v21
	v_lshrrev_b32_e32 v5, 5, v22
	v_or_b32_e32 v23, 0x80, v21
	v_and_b32_e32 v5, 0x1e4, v5
	v_add_u32_e32 v38, v5, v22
	v_lshrrev_b32_e32 v5, 5, v23
	v_add_u32_e32 v24, 0xc0, v21
	v_and_b32_e32 v5, 0x1e4, v5
	v_add_u32_e32 v39, v5, v23
	v_lshrrev_b32_e32 v5, 5, v24
	v_or_b32_e32 v25, 0x100, v21
	v_and_b32_e32 v5, 0x1ec, v5
	v_add_u32_e32 v40, v5, v24
	v_lshrrev_b32_e32 v5, 5, v25
	v_add_u32_e32 v26, 0x140, v21
	v_and_b32_e32 v5, 0x1e8, v5
	;; [unrolled: 8-line block ×7, first 2 shown]
	v_add_u32_e32 v51, v5, v35
	v_lshrrev_b32_e32 v5, 5, v36
	v_and_b32_e32 v5, 0x3fc, v5
	v_add_u32_e32 v52, v5, v36
	v_and_b32_e32 v5, 0x3c0, v0
	v_add_u32_e32 v6, v8, v5
	v_add_u16_e32 v7, v8, v5
	v_min_u32_e32 v5, 0x1c0, v5
	v_or_b32_e32 v5, 63, v5
	v_lshrrev_b16_e32 v7, 1, v7
	v_cmp_eq_u32_e64 s[18:19], v5, v0
	v_cmp_eq_u32_e64 s[22:23], 0, v4
	v_cmp_lt_u32_e64 s[24:25], 1, v4
	v_cmp_lt_u32_e64 s[26:27], 3, v4
	v_add_u32_e32 v4, -1, v8
	v_and_b32_e32 v5, 64, v8
	v_and_b32_e32 v7, 0x3fc, v7
	v_cmp_lt_i32_e32 vcc, v4, v5
	v_mov_b32_e32 v3, 0
	v_lshl_add_u32 v53, v6, 4, v7
	v_and_b32_e32 v6, 15, v8
	v_cndmask_b32_e32 v4, v4, v8, vcc
	v_cmp_eq_u32_e64 s[6:7], 0, v6
	v_cmp_lt_u32_e64 s[8:9], 1, v6
	v_cmp_lt_u32_e64 s[10:11], 3, v6
	;; [unrolled: 1-line block ×3, first 2 shown]
	v_and_b32_e32 v6, 16, v8
	v_lshlrev_b32_e32 v55, 2, v4
	v_lshl_add_u64 v[4:5], s[30:31], 0, v[2:3]
	s_mul_i32 s2, s2, s33
	v_cmp_eq_u32_e64 s[14:15], 0, v6
	v_lshl_add_u64 v[6:7], v[4:5], 0, s[38:39]
	s_mov_b64 s[30:31], 0x3c0
	s_lshl_b32 s2, s2, 13
	s_mov_b32 s40, 0
	v_mov_b32_e32 v9, v3
	v_cmp_lt_u32_e64 s[16:17], 31, v8
	v_cmp_gt_u32_e64 s[20:21], 8, v0
	v_add_u32_e32 v54, -1, v1
	v_cmp_eq_u32_e64 s[28:29], 0, v0
	v_lshl_add_u64 v[10:11], v[6:7], 0, s[30:31]
	v_lshl_add_u64 v[16:17], s[36:37], 0, v[4:5]
	s_sub_i32 s48, s42, s2
	s_mov_b64 s[2:3], 0x2000
	v_mov_b64_e32 v[12:13], 0x2000
	v_mov_b64_e32 v[14:15], 0x1fff
	s_mov_b32 s38, 0x7060004
	s_mov_b32 s39, 0x7000504
	;; [unrolled: 1-line block ×4, first 2 shown]
	s_branch .LBB12_14
.LBB12_13:                              ;   in Loop: Header=BB12_14 Depth=1
	s_add_u32 s44, s44, 0xffffe000
	s_addc_u32 s45, s45, -1
	s_add_i32 s33, s33, -1
	s_addk_i32 s48, 0xe000
	s_cmp_eq_u32 s33, 0
	v_lshl_add_u64 v[10:11], v[10:11], 0, s[2:3]
	v_lshl_add_u64 v[16:17], v[16:17], 0, s[2:3]
	s_cselect_b64 s[30:31], -1, 0
	s_waitcnt lgkmcnt(0)
	s_barrier
	s_andn2_b64 vcc, exec, s[30:31]
	s_cbranch_vccz .LBB12_98
.LBB12_14:                              ; =>This Inner Loop Header: Depth=1
	v_cmp_gt_i64_e32 vcc, s[44:45], v[14:15]
	s_mov_b64 s[36:37], -1
	v_cmp_gt_u32_e64 s[30:31], s48, v21
	s_cbranch_vccnz .LBB12_33
; %bb.15:                               ;   in Loop: Header=BB12_14 Depth=1
	s_mov_b32 s41, s40
	s_mov_b32 s42, s40
	;; [unrolled: 1-line block ×3, first 2 shown]
	v_mov_b64_e32 v[4:5], s[40:41]
	v_lshl_add_u64 v[18:19], v[16:17], 0, v[8:9]
	v_mov_b64_e32 v[6:7], s[42:43]
	s_and_saveexec_b64 s[36:37], s[30:31]
	s_cbranch_execnz .LBB12_83
; %bb.16:                               ;   in Loop: Header=BB12_14 Depth=1
	s_or_b64 exec, exec, s[36:37]
	v_cmp_gt_u32_e32 vcc, s48, v22
	s_and_saveexec_b64 s[30:31], vcc
	s_cbranch_execnz .LBB12_84
.LBB12_17:                              ;   in Loop: Header=BB12_14 Depth=1
	s_or_b64 exec, exec, s[30:31]
	v_cmp_gt_u32_e32 vcc, s48, v23
	s_and_saveexec_b64 s[30:31], vcc
	s_cbranch_execnz .LBB12_85
.LBB12_18:                              ;   in Loop: Header=BB12_14 Depth=1
	s_or_b64 exec, exec, s[30:31]
	v_cmp_gt_u32_e32 vcc, s48, v24
	s_and_saveexec_b64 s[30:31], vcc
	s_cbranch_execnz .LBB12_86
.LBB12_19:                              ;   in Loop: Header=BB12_14 Depth=1
	s_or_b64 exec, exec, s[30:31]
	v_cmp_gt_u32_e32 vcc, s48, v25
	s_and_saveexec_b64 s[30:31], vcc
	s_cbranch_execnz .LBB12_87
.LBB12_20:                              ;   in Loop: Header=BB12_14 Depth=1
	s_or_b64 exec, exec, s[30:31]
	v_cmp_gt_u32_e32 vcc, s48, v26
	s_and_saveexec_b64 s[30:31], vcc
	s_cbranch_execnz .LBB12_88
.LBB12_21:                              ;   in Loop: Header=BB12_14 Depth=1
	s_or_b64 exec, exec, s[30:31]
	v_cmp_gt_u32_e32 vcc, s48, v27
	s_and_saveexec_b64 s[30:31], vcc
	s_cbranch_execnz .LBB12_89
.LBB12_22:                              ;   in Loop: Header=BB12_14 Depth=1
	s_or_b64 exec, exec, s[30:31]
	v_cmp_gt_u32_e32 vcc, s48, v28
	s_and_saveexec_b64 s[30:31], vcc
	s_cbranch_execnz .LBB12_90
.LBB12_23:                              ;   in Loop: Header=BB12_14 Depth=1
	s_or_b64 exec, exec, s[30:31]
	v_cmp_gt_u32_e32 vcc, s48, v29
	s_and_saveexec_b64 s[30:31], vcc
	s_cbranch_execnz .LBB12_91
.LBB12_24:                              ;   in Loop: Header=BB12_14 Depth=1
	s_or_b64 exec, exec, s[30:31]
	v_cmp_gt_u32_e32 vcc, s48, v30
	s_and_saveexec_b64 s[30:31], vcc
	s_cbranch_execnz .LBB12_92
.LBB12_25:                              ;   in Loop: Header=BB12_14 Depth=1
	s_or_b64 exec, exec, s[30:31]
	v_cmp_gt_u32_e32 vcc, s48, v31
	s_and_saveexec_b64 s[30:31], vcc
	s_cbranch_execnz .LBB12_93
.LBB12_26:                              ;   in Loop: Header=BB12_14 Depth=1
	s_or_b64 exec, exec, s[30:31]
	v_cmp_gt_u32_e32 vcc, s48, v32
	s_and_saveexec_b64 s[30:31], vcc
	s_cbranch_execnz .LBB12_94
.LBB12_27:                              ;   in Loop: Header=BB12_14 Depth=1
	s_or_b64 exec, exec, s[30:31]
	v_cmp_gt_u32_e32 vcc, s48, v33
	s_and_saveexec_b64 s[30:31], vcc
	s_cbranch_execnz .LBB12_95
.LBB12_28:                              ;   in Loop: Header=BB12_14 Depth=1
	s_or_b64 exec, exec, s[30:31]
	v_cmp_gt_u32_e32 vcc, s48, v34
	s_and_saveexec_b64 s[30:31], vcc
	s_cbranch_execnz .LBB12_96
.LBB12_29:                              ;   in Loop: Header=BB12_14 Depth=1
	s_or_b64 exec, exec, s[30:31]
	v_cmp_gt_u32_e32 vcc, s48, v35
	s_and_saveexec_b64 s[30:31], vcc
	s_cbranch_execnz .LBB12_97
.LBB12_30:                              ;   in Loop: Header=BB12_14 Depth=1
	s_or_b64 exec, exec, s[30:31]
	v_cmp_gt_u32_e32 vcc, s48, v36
	s_and_saveexec_b64 s[30:31], vcc
	s_cbranch_execz .LBB12_32
.LBB12_31:                              ;   in Loop: Header=BB12_14 Depth=1
	global_load_ubyte v2, v[18:19], off offset:960
	s_waitcnt vmcnt(0)
	v_perm_b32 v7, v7, v2, s46
.LBB12_32:                              ;   in Loop: Header=BB12_14 Depth=1
	s_or_b64 exec, exec, s[30:31]
	v_lshrrev_b32_e32 v2, 8, v4
	ds_write_b8 v37, v4
	ds_write_b8 v38, v2
	ds_write_b8_d16_hi v39, v4
	v_lshrrev_b32_e32 v2, 24, v4
	ds_write_b8 v40, v2
	ds_write_b8 v41, v5
	v_lshrrev_b32_e32 v2, 8, v5
	ds_write_b8 v42, v2
	ds_write_b8_d16_hi v43, v5
	v_lshrrev_b32_e32 v2, 24, v5
	ds_write_b8 v44, v2
	ds_write_b8 v45, v6
	v_lshrrev_b32_e32 v2, 8, v6
	;; [unrolled: 6-line block ×3, first 2 shown]
	ds_write_b8 v50, v2
	ds_write_b8_d16_hi v51, v7
	v_lshrrev_b32_e32 v2, 24, v7
	s_mov_b64 s[36:37], 0
	ds_write_b8 v52, v2
	; wave barrier
.LBB12_33:                              ;   in Loop: Header=BB12_14 Depth=1
	s_and_b64 vcc, exec, s[36:37]
	s_cbranch_vccz .LBB12_35
; %bb.34:                               ;   in Loop: Header=BB12_14 Depth=1
	v_lshl_add_u64 v[4:5], v[16:17], 0, v[8:9]
	global_load_ubyte v2, v[4:5], off
	global_load_ubyte v6, v[4:5], off offset:64
	global_load_ubyte v7, v[4:5], off offset:128
	global_load_ubyte v18, v[4:5], off offset:192
	global_load_ubyte v19, v[4:5], off offset:256
	global_load_ubyte v56, v[4:5], off offset:320
	global_load_ubyte v57, v[4:5], off offset:384
	global_load_ubyte v58, v[4:5], off offset:448
	global_load_ubyte v59, v[4:5], off offset:512
	global_load_ubyte v60, v[4:5], off offset:576
	global_load_ubyte v61, v[4:5], off offset:640
	global_load_ubyte v62, v[4:5], off offset:704
	global_load_ubyte v63, v[4:5], off offset:768
	global_load_ubyte v64, v[4:5], off offset:832
	global_load_ubyte v65, v[4:5], off offset:896
	s_nop 0
	global_load_ubyte v4, v[4:5], off offset:960
	s_waitcnt vmcnt(15)
	ds_write_b8 v37, v2
	s_waitcnt vmcnt(14)
	ds_write_b8 v38, v6
	;; [unrolled: 2-line block ×16, first 2 shown]
	; wave barrier
.LBB12_35:                              ;   in Loop: Header=BB12_14 Depth=1
	ds_read_b128 v[4:7], v53
	s_waitcnt lgkmcnt(0)
	s_barrier
	v_lshrrev_b32_e32 v18, 8, v4
	v_add_u16_e32 v2, v18, v4
	v_add_u16_sdwa v2, v2, v4 dst_sel:DWORD dst_unused:UNUSED_PAD src0_sel:DWORD src1_sel:WORD_1
	v_add_u16_sdwa v2, v2, v4 dst_sel:DWORD dst_unused:UNUSED_PAD src0_sel:DWORD src1_sel:BYTE_3
	v_lshrrev_b32_e32 v56, 8, v5
	v_add_u16_e32 v2, v2, v5
	v_add_u16_e32 v2, v2, v56
	v_add_u16_sdwa v2, v2, v5 dst_sel:DWORD dst_unused:UNUSED_PAD src0_sel:DWORD src1_sel:WORD_1
	v_add_u16_sdwa v2, v2, v5 dst_sel:DWORD dst_unused:UNUSED_PAD src0_sel:DWORD src1_sel:BYTE_3
	v_lshrrev_b32_e32 v58, 8, v6
	v_add_u16_e32 v2, v2, v6
	;; [unrolled: 5-line block ×3, first 2 shown]
	v_add_u16_e32 v2, v2, v59
	v_add_u16_sdwa v2, v2, v7 dst_sel:DWORD dst_unused:UNUSED_PAD src0_sel:DWORD src1_sel:WORD_1
	v_add_u16_sdwa v2, v2, v7 dst_sel:DWORD dst_unused:UNUSED_PAD src0_sel:DWORD src1_sel:BYTE_3
	v_and_b32_e32 v19, 0xff, v2
	s_nop 1
	v_mov_b32_dpp v19, v19 row_shr:1 row_mask:0xf bank_mask:0xf
	v_cndmask_b32_e64 v19, v19, 0, s[6:7]
	v_add_u16_e32 v2, v2, v19
	v_and_b32_e32 v19, 0xff, v2
	s_nop 1
	v_mov_b32_dpp v19, v19 row_shr:2 row_mask:0xf bank_mask:0xf
	v_cndmask_b32_e64 v19, 0, v19, s[8:9]
	v_add_u16_e32 v2, v2, v19
	;; [unrolled: 5-line block ×4, first 2 shown]
	v_and_b32_e32 v19, 0xff, v2
	s_nop 1
	v_mov_b32_dpp v19, v19 row_bcast:15 row_mask:0xf bank_mask:0xf
	v_cndmask_b32_e64 v19, v19, 0, s[14:15]
	v_add_u16_e32 v2, v2, v19
	v_and_b32_e32 v19, 0xff, v2
	s_nop 1
	v_mov_b32_dpp v19, v19 row_bcast:31 row_mask:0xf bank_mask:0xf
	v_cndmask_b32_e64 v19, 0, v19, s[16:17]
	v_add_u16_e32 v2, v2, v19
	s_and_saveexec_b64 s[30:31], s[18:19]
	s_cbranch_execz .LBB12_37
; %bb.36:                               ;   in Loop: Header=BB12_14 Depth=1
	ds_write_b8 v1, v2
.LBB12_37:                              ;   in Loop: Header=BB12_14 Depth=1
	s_or_b64 exec, exec, s[30:31]
	s_waitcnt lgkmcnt(0)
	s_barrier
	s_and_saveexec_b64 s[30:31], s[20:21]
	s_cbranch_execz .LBB12_39
; %bb.38:                               ;   in Loop: Header=BB12_14 Depth=1
	ds_read_u8 v19, v0
	s_waitcnt lgkmcnt(0)
	v_and_b32_e32 v57, 0xff, v19
	s_nop 1
	v_mov_b32_dpp v57, v57 row_shr:1 row_mask:0xf bank_mask:0xf
	v_cndmask_b32_e64 v57, v57, 0, s[22:23]
	v_add_u16_e32 v19, v57, v19
	v_and_b32_e32 v57, 0xff, v19
	s_nop 1
	v_mov_b32_dpp v57, v57 row_shr:2 row_mask:0xf bank_mask:0xf
	v_cndmask_b32_e64 v57, 0, v57, s[24:25]
	v_add_u16_e32 v19, v19, v57
	;; [unrolled: 5-line block ×3, first 2 shown]
	ds_write_b8 v0, v19
.LBB12_39:                              ;   in Loop: Header=BB12_14 Depth=1
	s_or_b64 exec, exec, s[30:31]
	s_waitcnt lgkmcnt(0)
	s_barrier
	s_waitcnt lgkmcnt(0)
                                        ; implicit-def: $vgpr19
	s_and_saveexec_b64 s[30:31], s[34:35]
	s_cbranch_execz .LBB12_41
; %bb.40:                               ;   in Loop: Header=BB12_14 Depth=1
	ds_read_u8 v19, v54
	s_waitcnt lgkmcnt(0)
	v_add_u16_e32 v2, v19, v2
.LBB12_41:                              ;   in Loop: Header=BB12_14 Depth=1
	s_or_b64 exec, exec, s[30:31]
	v_and_b32_e32 v2, 0xff, v2
	ds_bpermute_b32 v2, v55, v2
	s_and_saveexec_b64 s[30:31], s[4:5]
	s_cbranch_execz .LBB12_45
; %bb.42:                               ;   in Loop: Header=BB12_14 Depth=1
	ds_read_u8 v57, v3 offset:7
	s_and_saveexec_b64 s[36:37], s[28:29]
	s_cbranch_execz .LBB12_44
; %bb.43:                               ;   in Loop: Header=BB12_14 Depth=1
	ds_write_b8 v3, v20 offset:7
.LBB12_44:                              ;   in Loop: Header=BB12_14 Depth=1
	s_or_b64 exec, exec, s[36:37]
	s_waitcnt lgkmcnt(0)
	v_add_u16_e32 v20, v57, v20
.LBB12_45:                              ;   in Loop: Header=BB12_14 Depth=1
	s_or_b64 exec, exec, s[30:31]
	s_waitcnt lgkmcnt(0)
	s_barrier
	ds_read_u8 v57, v3 offset:7
	v_cndmask_b32_e64 v2, v2, v19, s[0:1]
	v_cndmask_b32_e64 v2, v2, 0, s[28:29]
	v_add_u16_e32 v2, v2, v4
	v_cmp_lt_i64_e32 vcc, s[44:45], v[12:13]
	s_waitcnt lgkmcnt(0)
	v_add_u16_e32 v2, v2, v57
	v_add_u16_e32 v60, v2, v18
	v_add_u16_sdwa v18, v60, v4 dst_sel:DWORD dst_unused:UNUSED_PAD src0_sel:DWORD src1_sel:WORD_1
	v_add_u16_sdwa v4, v18, v4 dst_sel:DWORD dst_unused:UNUSED_PAD src0_sel:DWORD src1_sel:BYTE_3
	v_add_u16_e32 v19, v4, v5
	v_add_u16_e32 v61, v19, v56
	v_add_u16_sdwa v56, v61, v5 dst_sel:DWORD dst_unused:UNUSED_PAD src0_sel:DWORD src1_sel:WORD_1
	v_add_u16_sdwa v5, v56, v5 dst_sel:DWORD dst_unused:UNUSED_PAD src0_sel:DWORD src1_sel:BYTE_3
	;; [unrolled: 4-line block ×4, first 2 shown]
	s_and_b64 vcc, exec, vcc
	v_lshlrev_b16_e32 v65, 8, v63
	v_lshlrev_b16_e32 v66, 8, v7
	;; [unrolled: 1-line block ×8, first 2 shown]
	v_lshl_add_u64 v[4:5], v[10:11], 0, v[8:9]
	s_barrier
	s_cbranch_vccz .LBB12_68
; %bb.46:                               ;   in Loop: Header=BB12_14 Depth=1
	v_or_b32_sdwa v67, v6, v65 dst_sel:DWORD dst_unused:UNUSED_PAD src0_sel:BYTE_0 src1_sel:DWORD
	v_or_b32_sdwa v68, v59, v66 dst_sel:WORD_1 dst_unused:UNUSED_PAD src0_sel:BYTE_0 src1_sel:DWORD
	v_cmp_gt_u32_e32 vcc, s48, v21
	v_or_b32_sdwa v71, v67, v68 dst_sel:DWORD dst_unused:UNUSED_PAD src0_sel:WORD_0 src1_sel:DWORD
	v_or_b32_sdwa v67, v57, v63 dst_sel:DWORD dst_unused:UNUSED_PAD src0_sel:BYTE_0 src1_sel:DWORD
	v_or_b32_sdwa v68, v58, v64 dst_sel:WORD_1 dst_unused:UNUSED_PAD src0_sel:BYTE_0 src1_sel:DWORD
	s_nop 0
	v_or_b32_sdwa v70, v67, v68 dst_sel:DWORD dst_unused:UNUSED_PAD src0_sel:WORD_0 src1_sel:DWORD
	v_or_b32_sdwa v67, v19, v61 dst_sel:DWORD dst_unused:UNUSED_PAD src0_sel:BYTE_0 src1_sel:DWORD
	v_or_b32_sdwa v68, v56, v62 dst_sel:WORD_1 dst_unused:UNUSED_PAD src0_sel:BYTE_0 src1_sel:DWORD
	s_nop 0
	;; [unrolled: 4-line block ×3, first 2 shown]
	v_or_b32_sdwa v68, v67, v68 dst_sel:DWORD dst_unused:UNUSED_PAD src0_sel:WORD_0 src1_sel:DWORD
	ds_write_b128 v53, v[68:71]
	; wave barrier
	ds_read_u8 v82, v37
	ds_read_u8 v81, v38
	;; [unrolled: 1-line block ×16, first 2 shown]
	s_and_saveexec_b64 s[30:31], vcc
	s_cbranch_execnz .LBB12_69
; %bb.47:                               ;   in Loop: Header=BB12_14 Depth=1
	s_or_b64 exec, exec, s[30:31]
	v_cmp_gt_u32_e32 vcc, s48, v22
	s_and_saveexec_b64 s[30:31], vcc
	s_cbranch_execnz .LBB12_70
.LBB12_48:                              ;   in Loop: Header=BB12_14 Depth=1
	s_or_b64 exec, exec, s[30:31]
	v_cmp_gt_u32_e32 vcc, s48, v23
	s_and_saveexec_b64 s[30:31], vcc
	s_cbranch_execnz .LBB12_71
.LBB12_49:                              ;   in Loop: Header=BB12_14 Depth=1
	s_or_b64 exec, exec, s[30:31]
	v_cmp_gt_u32_e32 vcc, s48, v24
	s_and_saveexec_b64 s[30:31], vcc
	s_cbranch_execnz .LBB12_72
.LBB12_50:                              ;   in Loop: Header=BB12_14 Depth=1
	s_or_b64 exec, exec, s[30:31]
	v_cmp_gt_u32_e32 vcc, s48, v25
	s_and_saveexec_b64 s[30:31], vcc
	s_cbranch_execnz .LBB12_73
.LBB12_51:                              ;   in Loop: Header=BB12_14 Depth=1
	s_or_b64 exec, exec, s[30:31]
	v_cmp_gt_u32_e32 vcc, s48, v26
	s_and_saveexec_b64 s[30:31], vcc
	s_cbranch_execnz .LBB12_74
.LBB12_52:                              ;   in Loop: Header=BB12_14 Depth=1
	s_or_b64 exec, exec, s[30:31]
	v_cmp_gt_u32_e32 vcc, s48, v27
	s_and_saveexec_b64 s[30:31], vcc
	s_cbranch_execnz .LBB12_75
.LBB12_53:                              ;   in Loop: Header=BB12_14 Depth=1
	s_or_b64 exec, exec, s[30:31]
	v_cmp_gt_u32_e32 vcc, s48, v28
	s_and_saveexec_b64 s[30:31], vcc
	s_cbranch_execnz .LBB12_76
.LBB12_54:                              ;   in Loop: Header=BB12_14 Depth=1
	s_or_b64 exec, exec, s[30:31]
	v_cmp_gt_u32_e32 vcc, s48, v29
	s_and_saveexec_b64 s[30:31], vcc
	s_cbranch_execnz .LBB12_77
.LBB12_55:                              ;   in Loop: Header=BB12_14 Depth=1
	s_or_b64 exec, exec, s[30:31]
	v_cmp_gt_u32_e32 vcc, s48, v30
	s_and_saveexec_b64 s[30:31], vcc
	s_cbranch_execnz .LBB12_78
.LBB12_56:                              ;   in Loop: Header=BB12_14 Depth=1
	s_or_b64 exec, exec, s[30:31]
	v_cmp_gt_u32_e32 vcc, s48, v31
	s_and_saveexec_b64 s[30:31], vcc
	s_cbranch_execnz .LBB12_79
.LBB12_57:                              ;   in Loop: Header=BB12_14 Depth=1
	s_or_b64 exec, exec, s[30:31]
	v_cmp_gt_u32_e32 vcc, s48, v32
	s_and_saveexec_b64 s[30:31], vcc
	s_cbranch_execnz .LBB12_80
.LBB12_58:                              ;   in Loop: Header=BB12_14 Depth=1
	s_or_b64 exec, exec, s[30:31]
	v_cmp_gt_u32_e32 vcc, s48, v33
	s_and_saveexec_b64 s[30:31], vcc
	s_cbranch_execnz .LBB12_81
.LBB12_59:                              ;   in Loop: Header=BB12_14 Depth=1
	s_or_b64 exec, exec, s[30:31]
	v_cmp_gt_u32_e32 vcc, s48, v34
	s_and_saveexec_b64 s[30:31], vcc
	s_cbranch_execnz .LBB12_82
.LBB12_60:                              ;   in Loop: Header=BB12_14 Depth=1
	s_or_b64 exec, exec, s[30:31]
	v_cmp_gt_u32_e32 vcc, s48, v35
	s_and_saveexec_b64 s[30:31], vcc
	s_cbranch_execz .LBB12_62
.LBB12_61:                              ;   in Loop: Header=BB12_14 Depth=1
	s_waitcnt lgkmcnt(1)
	global_store_byte v[4:5], v68, off offset:-64
.LBB12_62:                              ;   in Loop: Header=BB12_14 Depth=1
	s_or_b64 exec, exec, s[30:31]
	v_cmp_gt_u32_e64 s[30:31], s48, v36
	s_branch .LBB12_64
.LBB12_63:                              ;   in Loop: Header=BB12_14 Depth=1
	v_or_b32_sdwa v6, v6, v65 dst_sel:DWORD dst_unused:UNUSED_PAD src0_sel:BYTE_0 src1_sel:DWORD
	v_or_b32_sdwa v59, v59, v66 dst_sel:WORD_1 dst_unused:UNUSED_PAD src0_sel:BYTE_0 src1_sel:DWORD
	v_or_b32_sdwa v2, v2, v7 dst_sel:DWORD dst_unused:UNUSED_PAD src0_sel:BYTE_0 src1_sel:DWORD
	v_or_b32_sdwa v59, v6, v59 dst_sel:DWORD dst_unused:UNUSED_PAD src0_sel:WORD_0 src1_sel:DWORD
	v_or_b32_sdwa v6, v57, v63 dst_sel:DWORD dst_unused:UNUSED_PAD src0_sel:BYTE_0 src1_sel:DWORD
	v_or_b32_sdwa v57, v58, v64 dst_sel:WORD_1 dst_unused:UNUSED_PAD src0_sel:BYTE_0 src1_sel:DWORD
	s_or_b64 s[30:31], s[30:31], exec
	v_or_b32_sdwa v58, v6, v57 dst_sel:DWORD dst_unused:UNUSED_PAD src0_sel:WORD_0 src1_sel:DWORD
	v_or_b32_sdwa v6, v19, v61 dst_sel:DWORD dst_unused:UNUSED_PAD src0_sel:BYTE_0 src1_sel:DWORD
	v_or_b32_sdwa v19, v56, v62 dst_sel:WORD_1 dst_unused:UNUSED_PAD src0_sel:BYTE_0 src1_sel:DWORD
	s_nop 0
	v_or_b32_sdwa v57, v6, v19 dst_sel:DWORD dst_unused:UNUSED_PAD src0_sel:WORD_0 src1_sel:DWORD
	v_or_b32_sdwa v6, v18, v60 dst_sel:WORD_1 dst_unused:UNUSED_PAD src0_sel:BYTE_0 src1_sel:DWORD
	s_nop 0
	v_or_b32_sdwa v56, v2, v6 dst_sel:DWORD dst_unused:UNUSED_PAD src0_sel:WORD_0 src1_sel:DWORD
	ds_write_b128 v53, v[56:59]
	; wave barrier
	ds_read_u8 v2, v37
	ds_read_u8 v6, v38
	;; [unrolled: 1-line block ×15, first 2 shown]
	s_waitcnt lgkmcnt(14)
	ds_read_u8 v67, v52
	global_store_byte v[4:5], v2, off offset:-960
	s_waitcnt lgkmcnt(14)
	global_store_byte v[4:5], v6, off offset:-896
	s_waitcnt lgkmcnt(13)
	;; [unrolled: 2-line block ×14, first 2 shown]
	global_store_byte v[4:5], v65, off offset:-64
.LBB12_64:                              ;   in Loop: Header=BB12_14 Depth=1
	s_and_saveexec_b64 s[36:37], s[30:31]
	s_cbranch_execz .LBB12_66
; %bb.65:                               ;   in Loop: Header=BB12_14 Depth=1
	s_waitcnt lgkmcnt(0)
	global_store_byte v[4:5], v67, off
.LBB12_66:                              ;   in Loop: Header=BB12_14 Depth=1
	s_or_b64 exec, exec, s[36:37]
	v_mov_b64_e32 v[4:5], 0x2001
	v_cmp_lt_i64_e32 vcc, s[44:45], v[4:5]
	s_cbranch_vccz .LBB12_13
; %bb.67:
                                        ; implicit-def: $vgpr20
                                        ; implicit-def: $sgpr44_sgpr45
                                        ; implicit-def: $sgpr33
                                        ; implicit-def: $vgpr10_vgpr11
                                        ; implicit-def: $vgpr16_vgpr17
                                        ; implicit-def: $sgpr48
	s_branch .LBB12_98
.LBB12_68:                              ;   in Loop: Header=BB12_14 Depth=1
	s_mov_b64 s[30:31], 0
                                        ; implicit-def: $vgpr67
	s_cbranch_execnz .LBB12_63
	s_branch .LBB12_64
.LBB12_69:                              ;   in Loop: Header=BB12_14 Depth=1
	s_waitcnt lgkmcnt(14)
	global_store_byte v[4:5], v82, off offset:-960
	s_or_b64 exec, exec, s[30:31]
	v_cmp_gt_u32_e32 vcc, s48, v22
	s_and_saveexec_b64 s[30:31], vcc
	s_cbranch_execz .LBB12_48
.LBB12_70:                              ;   in Loop: Header=BB12_14 Depth=1
	s_waitcnt lgkmcnt(14)
	global_store_byte v[4:5], v81, off offset:-896
	s_or_b64 exec, exec, s[30:31]
	v_cmp_gt_u32_e32 vcc, s48, v23
	s_and_saveexec_b64 s[30:31], vcc
	s_cbranch_execz .LBB12_49
.LBB12_71:                              ;   in Loop: Header=BB12_14 Depth=1
	s_waitcnt lgkmcnt(13)
	global_store_byte v[4:5], v80, off offset:-832
	s_or_b64 exec, exec, s[30:31]
	v_cmp_gt_u32_e32 vcc, s48, v24
	s_and_saveexec_b64 s[30:31], vcc
	s_cbranch_execz .LBB12_50
.LBB12_72:                              ;   in Loop: Header=BB12_14 Depth=1
	s_waitcnt lgkmcnt(12)
	global_store_byte v[4:5], v79, off offset:-768
	s_or_b64 exec, exec, s[30:31]
	v_cmp_gt_u32_e32 vcc, s48, v25
	s_and_saveexec_b64 s[30:31], vcc
	s_cbranch_execz .LBB12_51
.LBB12_73:                              ;   in Loop: Header=BB12_14 Depth=1
	s_waitcnt lgkmcnt(11)
	global_store_byte v[4:5], v78, off offset:-704
	s_or_b64 exec, exec, s[30:31]
	v_cmp_gt_u32_e32 vcc, s48, v26
	s_and_saveexec_b64 s[30:31], vcc
	s_cbranch_execz .LBB12_52
.LBB12_74:                              ;   in Loop: Header=BB12_14 Depth=1
	s_waitcnt lgkmcnt(10)
	global_store_byte v[4:5], v77, off offset:-640
	s_or_b64 exec, exec, s[30:31]
	v_cmp_gt_u32_e32 vcc, s48, v27
	s_and_saveexec_b64 s[30:31], vcc
	s_cbranch_execz .LBB12_53
.LBB12_75:                              ;   in Loop: Header=BB12_14 Depth=1
	s_waitcnt lgkmcnt(9)
	global_store_byte v[4:5], v76, off offset:-576
	s_or_b64 exec, exec, s[30:31]
	v_cmp_gt_u32_e32 vcc, s48, v28
	s_and_saveexec_b64 s[30:31], vcc
	s_cbranch_execz .LBB12_54
.LBB12_76:                              ;   in Loop: Header=BB12_14 Depth=1
	s_waitcnt lgkmcnt(8)
	global_store_byte v[4:5], v75, off offset:-512
	s_or_b64 exec, exec, s[30:31]
	v_cmp_gt_u32_e32 vcc, s48, v29
	s_and_saveexec_b64 s[30:31], vcc
	s_cbranch_execz .LBB12_55
.LBB12_77:                              ;   in Loop: Header=BB12_14 Depth=1
	s_waitcnt lgkmcnt(7)
	global_store_byte v[4:5], v74, off offset:-448
	s_or_b64 exec, exec, s[30:31]
	v_cmp_gt_u32_e32 vcc, s48, v30
	s_and_saveexec_b64 s[30:31], vcc
	s_cbranch_execz .LBB12_56
.LBB12_78:                              ;   in Loop: Header=BB12_14 Depth=1
	s_waitcnt lgkmcnt(6)
	global_store_byte v[4:5], v73, off offset:-384
	s_or_b64 exec, exec, s[30:31]
	v_cmp_gt_u32_e32 vcc, s48, v31
	s_and_saveexec_b64 s[30:31], vcc
	s_cbranch_execz .LBB12_57
.LBB12_79:                              ;   in Loop: Header=BB12_14 Depth=1
	s_waitcnt lgkmcnt(5)
	global_store_byte v[4:5], v72, off offset:-320
	s_or_b64 exec, exec, s[30:31]
	v_cmp_gt_u32_e32 vcc, s48, v32
	s_and_saveexec_b64 s[30:31], vcc
	s_cbranch_execz .LBB12_58
.LBB12_80:                              ;   in Loop: Header=BB12_14 Depth=1
	s_waitcnt lgkmcnt(4)
	global_store_byte v[4:5], v71, off offset:-256
	s_or_b64 exec, exec, s[30:31]
	v_cmp_gt_u32_e32 vcc, s48, v33
	s_and_saveexec_b64 s[30:31], vcc
	s_cbranch_execz .LBB12_59
.LBB12_81:                              ;   in Loop: Header=BB12_14 Depth=1
	s_waitcnt lgkmcnt(3)
	global_store_byte v[4:5], v70, off offset:-192
	s_or_b64 exec, exec, s[30:31]
	v_cmp_gt_u32_e32 vcc, s48, v34
	s_and_saveexec_b64 s[30:31], vcc
	s_cbranch_execz .LBB12_60
.LBB12_82:                              ;   in Loop: Header=BB12_14 Depth=1
	s_waitcnt lgkmcnt(2)
	global_store_byte v[4:5], v69, off offset:-128
	s_or_b64 exec, exec, s[30:31]
	v_cmp_gt_u32_e32 vcc, s48, v35
	s_and_saveexec_b64 s[30:31], vcc
	s_cbranch_execnz .LBB12_61
	s_branch .LBB12_62
.LBB12_83:                              ;   in Loop: Header=BB12_14 Depth=1
	global_load_ubyte v2, v[18:19], off
	v_mov_b32_e32 v4, v3
	v_mov_b32_e32 v5, v3
	s_waitcnt vmcnt(0)
	v_and_b32_e32 v2, 0xffff, v2
	v_mov_b64_e32 v[6:7], v[4:5]
	v_mov_b64_e32 v[4:5], v[2:3]
	s_or_b64 exec, exec, s[36:37]
	v_cmp_gt_u32_e32 vcc, s48, v22
	s_and_saveexec_b64 s[30:31], vcc
	s_cbranch_execz .LBB12_17
.LBB12_84:                              ;   in Loop: Header=BB12_14 Depth=1
	global_load_ubyte v2, v[18:19], off offset:64
	s_waitcnt vmcnt(0)
	v_perm_b32 v4, v4, v2, s38
	s_or_b64 exec, exec, s[30:31]
	v_cmp_gt_u32_e32 vcc, s48, v23
	s_and_saveexec_b64 s[30:31], vcc
	s_cbranch_execz .LBB12_18
.LBB12_85:                              ;   in Loop: Header=BB12_14 Depth=1
	global_load_ubyte v2, v[18:19], off offset:128
	s_waitcnt vmcnt(0)
	v_perm_b32 v4, v4, v2, s39
	s_or_b64 exec, exec, s[30:31]
	v_cmp_gt_u32_e32 vcc, s48, v24
	s_and_saveexec_b64 s[30:31], vcc
	s_cbranch_execz .LBB12_19
.LBB12_86:                              ;   in Loop: Header=BB12_14 Depth=1
	global_load_ubyte v2, v[18:19], off offset:192
	s_waitcnt vmcnt(0)
	v_perm_b32 v4, v4, v2, s46
	s_or_b64 exec, exec, s[30:31]
	v_cmp_gt_u32_e32 vcc, s48, v25
	s_and_saveexec_b64 s[30:31], vcc
	s_cbranch_execz .LBB12_20
.LBB12_87:                              ;   in Loop: Header=BB12_14 Depth=1
	global_load_ubyte v2, v[18:19], off offset:256
	s_waitcnt vmcnt(0)
	v_perm_b32 v5, v2, v5, s47
	s_or_b64 exec, exec, s[30:31]
	v_cmp_gt_u32_e32 vcc, s48, v26
	s_and_saveexec_b64 s[30:31], vcc
	s_cbranch_execz .LBB12_21
.LBB12_88:                              ;   in Loop: Header=BB12_14 Depth=1
	global_load_ubyte v2, v[18:19], off offset:320
	s_waitcnt vmcnt(0)
	v_perm_b32 v5, v5, v2, s38
	s_or_b64 exec, exec, s[30:31]
	v_cmp_gt_u32_e32 vcc, s48, v27
	s_and_saveexec_b64 s[30:31], vcc
	s_cbranch_execz .LBB12_22
.LBB12_89:                              ;   in Loop: Header=BB12_14 Depth=1
	global_load_ubyte v2, v[18:19], off offset:384
	s_waitcnt vmcnt(0)
	v_perm_b32 v5, v5, v2, s39
	s_or_b64 exec, exec, s[30:31]
	v_cmp_gt_u32_e32 vcc, s48, v28
	s_and_saveexec_b64 s[30:31], vcc
	s_cbranch_execz .LBB12_23
.LBB12_90:                              ;   in Loop: Header=BB12_14 Depth=1
	global_load_ubyte v2, v[18:19], off offset:448
	s_waitcnt vmcnt(0)
	v_perm_b32 v5, v5, v2, s46
	s_or_b64 exec, exec, s[30:31]
	v_cmp_gt_u32_e32 vcc, s48, v29
	s_and_saveexec_b64 s[30:31], vcc
	s_cbranch_execz .LBB12_24
.LBB12_91:                              ;   in Loop: Header=BB12_14 Depth=1
	global_load_ubyte v2, v[18:19], off offset:512
	s_waitcnt vmcnt(0)
	v_perm_b32 v6, v2, v6, s47
	s_or_b64 exec, exec, s[30:31]
	v_cmp_gt_u32_e32 vcc, s48, v30
	s_and_saveexec_b64 s[30:31], vcc
	s_cbranch_execz .LBB12_25
.LBB12_92:                              ;   in Loop: Header=BB12_14 Depth=1
	global_load_ubyte v2, v[18:19], off offset:576
	s_waitcnt vmcnt(0)
	v_perm_b32 v6, v6, v2, s38
	s_or_b64 exec, exec, s[30:31]
	v_cmp_gt_u32_e32 vcc, s48, v31
	s_and_saveexec_b64 s[30:31], vcc
	s_cbranch_execz .LBB12_26
.LBB12_93:                              ;   in Loop: Header=BB12_14 Depth=1
	global_load_ubyte v2, v[18:19], off offset:640
	s_waitcnt vmcnt(0)
	v_perm_b32 v6, v6, v2, s39
	s_or_b64 exec, exec, s[30:31]
	v_cmp_gt_u32_e32 vcc, s48, v32
	s_and_saveexec_b64 s[30:31], vcc
	s_cbranch_execz .LBB12_27
.LBB12_94:                              ;   in Loop: Header=BB12_14 Depth=1
	global_load_ubyte v2, v[18:19], off offset:704
	s_waitcnt vmcnt(0)
	v_perm_b32 v6, v6, v2, s46
	s_or_b64 exec, exec, s[30:31]
	v_cmp_gt_u32_e32 vcc, s48, v33
	s_and_saveexec_b64 s[30:31], vcc
	s_cbranch_execz .LBB12_28
.LBB12_95:                              ;   in Loop: Header=BB12_14 Depth=1
	global_load_ubyte v2, v[18:19], off offset:768
	s_waitcnt vmcnt(0)
	v_perm_b32 v7, v2, v7, s47
	s_or_b64 exec, exec, s[30:31]
	v_cmp_gt_u32_e32 vcc, s48, v34
	s_and_saveexec_b64 s[30:31], vcc
	s_cbranch_execz .LBB12_29
.LBB12_96:                              ;   in Loop: Header=BB12_14 Depth=1
	global_load_ubyte v2, v[18:19], off offset:832
	s_waitcnt vmcnt(0)
	v_perm_b32 v7, v7, v2, s38
	s_or_b64 exec, exec, s[30:31]
	v_cmp_gt_u32_e32 vcc, s48, v35
	s_and_saveexec_b64 s[30:31], vcc
	s_cbranch_execz .LBB12_30
.LBB12_97:                              ;   in Loop: Header=BB12_14 Depth=1
	global_load_ubyte v2, v[18:19], off offset:896
	s_waitcnt vmcnt(0)
	v_perm_b32 v7, v7, v2, s39
	s_or_b64 exec, exec, s[30:31]
	v_cmp_gt_u32_e32 vcc, s48, v36
	s_and_saveexec_b64 s[30:31], vcc
	s_cbranch_execnz .LBB12_31
	s_branch .LBB12_32
.LBB12_98:
	s_endpgm
	.section	.rodata,"a",@progbits
	.p2align	6, 0x0
	.amdhsa_kernel _ZN2at4cuda3cub17final_scan_kernelILi512ELi16EaEEvPKT1_PS3_S6_li
		.amdhsa_group_segment_fixed_size 8448
		.amdhsa_private_segment_fixed_size 0
		.amdhsa_kernarg_size 296
		.amdhsa_user_sgpr_count 2
		.amdhsa_user_sgpr_dispatch_ptr 0
		.amdhsa_user_sgpr_queue_ptr 0
		.amdhsa_user_sgpr_kernarg_segment_ptr 1
		.amdhsa_user_sgpr_dispatch_id 0
		.amdhsa_user_sgpr_kernarg_preload_length 0
		.amdhsa_user_sgpr_kernarg_preload_offset 0
		.amdhsa_user_sgpr_private_segment_size 0
		.amdhsa_uses_dynamic_stack 0
		.amdhsa_enable_private_segment 0
		.amdhsa_system_sgpr_workgroup_id_x 1
		.amdhsa_system_sgpr_workgroup_id_y 0
		.amdhsa_system_sgpr_workgroup_id_z 0
		.amdhsa_system_sgpr_workgroup_info 0
		.amdhsa_system_vgpr_workitem_id 0
		.amdhsa_next_free_vgpr 83
		.amdhsa_next_free_sgpr 49
		.amdhsa_accum_offset 84
		.amdhsa_reserve_vcc 1
		.amdhsa_float_round_mode_32 0
		.amdhsa_float_round_mode_16_64 0
		.amdhsa_float_denorm_mode_32 3
		.amdhsa_float_denorm_mode_16_64 3
		.amdhsa_dx10_clamp 1
		.amdhsa_ieee_mode 1
		.amdhsa_fp16_overflow 0
		.amdhsa_tg_split 0
		.amdhsa_exception_fp_ieee_invalid_op 0
		.amdhsa_exception_fp_denorm_src 0
		.amdhsa_exception_fp_ieee_div_zero 0
		.amdhsa_exception_fp_ieee_overflow 0
		.amdhsa_exception_fp_ieee_underflow 0
		.amdhsa_exception_fp_ieee_inexact 0
		.amdhsa_exception_int_div_zero 0
	.end_amdhsa_kernel
	.section	.text._ZN2at4cuda3cub17final_scan_kernelILi512ELi16EaEEvPKT1_PS3_S6_li,"axG",@progbits,_ZN2at4cuda3cub17final_scan_kernelILi512ELi16EaEEvPKT1_PS3_S6_li,comdat
.Lfunc_end12:
	.size	_ZN2at4cuda3cub17final_scan_kernelILi512ELi16EaEEvPKT1_PS3_S6_li, .Lfunc_end12-_ZN2at4cuda3cub17final_scan_kernelILi512ELi16EaEEvPKT1_PS3_S6_li
                                        ; -- End function
	.section	.AMDGPU.csdata,"",@progbits
; Kernel info:
; codeLenInByte = 4884
; NumSgprs: 55
; NumVgprs: 83
; NumAgprs: 0
; TotalNumVgprs: 83
; ScratchSize: 0
; MemoryBound: 0
; FloatMode: 240
; IeeeMode: 1
; LDSByteSize: 8448 bytes/workgroup (compile time only)
; SGPRBlocks: 6
; VGPRBlocks: 10
; NumSGPRsForWavesPerEU: 55
; NumVGPRsForWavesPerEU: 83
; AccumOffset: 84
; Occupancy: 5
; WaveLimiterHint : 0
; COMPUTE_PGM_RSRC2:SCRATCH_EN: 0
; COMPUTE_PGM_RSRC2:USER_SGPR: 2
; COMPUTE_PGM_RSRC2:TRAP_HANDLER: 0
; COMPUTE_PGM_RSRC2:TGID_X_EN: 1
; COMPUTE_PGM_RSRC2:TGID_Y_EN: 0
; COMPUTE_PGM_RSRC2:TGID_Z_EN: 0
; COMPUTE_PGM_RSRC2:TIDIG_COMP_CNT: 0
; COMPUTE_PGM_RSRC3_GFX90A:ACCUM_OFFSET: 20
; COMPUTE_PGM_RSRC3_GFX90A:TG_SPLIT: 0
	.section	.text._ZN7rocprim17ROCPRIM_304000_NS6detail31init_lookback_scan_state_kernelINS1_19lookback_scan_stateIaLb1ELb1EEEEEvT_jjPNS5_10value_typeE,"axG",@progbits,_ZN7rocprim17ROCPRIM_304000_NS6detail31init_lookback_scan_state_kernelINS1_19lookback_scan_stateIaLb1ELb1EEEEEvT_jjPNS5_10value_typeE,comdat
	.protected	_ZN7rocprim17ROCPRIM_304000_NS6detail31init_lookback_scan_state_kernelINS1_19lookback_scan_stateIaLb1ELb1EEEEEvT_jjPNS5_10value_typeE ; -- Begin function _ZN7rocprim17ROCPRIM_304000_NS6detail31init_lookback_scan_state_kernelINS1_19lookback_scan_stateIaLb1ELb1EEEEEvT_jjPNS5_10value_typeE
	.globl	_ZN7rocprim17ROCPRIM_304000_NS6detail31init_lookback_scan_state_kernelINS1_19lookback_scan_stateIaLb1ELb1EEEEEvT_jjPNS5_10value_typeE
	.p2align	8
	.type	_ZN7rocprim17ROCPRIM_304000_NS6detail31init_lookback_scan_state_kernelINS1_19lookback_scan_stateIaLb1ELb1EEEEEvT_jjPNS5_10value_typeE,@function
_ZN7rocprim17ROCPRIM_304000_NS6detail31init_lookback_scan_state_kernelINS1_19lookback_scan_stateIaLb1ELb1EEEEEvT_jjPNS5_10value_typeE: ; @_ZN7rocprim17ROCPRIM_304000_NS6detail31init_lookback_scan_state_kernelINS1_19lookback_scan_stateIaLb1ELb1EEEEEvT_jjPNS5_10value_typeE
; %bb.0:
	s_load_dword s3, s[0:1], 0x24
	s_load_dwordx2 s[8:9], s[0:1], 0x10
	s_load_dwordx4 s[4:7], s[0:1], 0x0
	s_waitcnt lgkmcnt(0)
	s_and_b32 s0, s3, 0xffff
	s_mul_i32 s2, s2, s0
	s_cmp_eq_u64 s[8:9], 0
	v_add_u32_e32 v0, s2, v0
	s_cbranch_scc1 .LBB13_8
; %bb.1:
	s_cmp_lt_u32 s7, s6
	s_cselect_b32 s0, s7, 0
	s_mov_b32 s3, 0
	v_cmp_eq_u32_e32 vcc, s0, v0
	s_and_saveexec_b64 s[0:1], vcc
	s_cbranch_execz .LBB13_7
; %bb.2:
	s_add_i32 s2, s7, 64
	s_lshl_b64 s[2:3], s[2:3], 1
	s_add_u32 s2, s4, s2
	s_addc_u32 s3, s5, s3
	v_mov_b32_e32 v1, 0
	global_load_ushort v2, v1, s[2:3] sc1
	s_mov_b32 s7, 1
	s_movk_i32 s10, 0xff
	s_waitcnt vmcnt(0)
	v_cmp_lt_u16_e32 vcc, s10, v2
	s_cbranch_vccnz .LBB13_6
.LBB13_3:                               ; =>This Loop Header: Depth=1
                                        ;     Child Loop BB13_4 Depth 2
	s_max_u32 s11, s7, 1
.LBB13_4:                               ;   Parent Loop BB13_3 Depth=1
                                        ; =>  This Inner Loop Header: Depth=2
	s_add_i32 s11, s11, -1
	s_cmp_eq_u32 s11, 0
	s_sleep 1
	s_cbranch_scc0 .LBB13_4
; %bb.5:                                ;   in Loop: Header=BB13_3 Depth=1
	global_load_ushort v2, v1, s[2:3] sc1
	s_cmp_lt_u32 s7, 32
	s_cselect_b64 s[12:13], -1, 0
	s_cmp_lg_u64 s[12:13], 0
	s_addc_u32 s7, s7, 0
	s_waitcnt vmcnt(0)
	v_cmp_lt_u16_e32 vcc, s10, v2
	s_cbranch_vccz .LBB13_3
.LBB13_6:
	v_mov_b32_e32 v1, 0
	global_store_byte v1, v2, s[8:9]
.LBB13_7:
	s_or_b64 exec, exec, s[0:1]
.LBB13_8:
	v_cmp_gt_u32_e32 vcc, s6, v0
	s_and_saveexec_b64 s[0:1], vcc
	s_cbranch_execnz .LBB13_11
; %bb.9:
	s_or_b64 exec, exec, s[0:1]
	v_cmp_gt_u32_e32 vcc, 64, v0
	s_and_saveexec_b64 s[0:1], vcc
	s_cbranch_execnz .LBB13_12
.LBB13_10:
	s_endpgm
.LBB13_11:
	v_add_u32_e32 v2, 64, v0
	v_mov_b32_e32 v3, 0
	v_lshl_add_u64 v[4:5], v[2:3], 1, s[4:5]
	global_store_short v[4:5], v3, off
	s_or_b64 exec, exec, s[0:1]
	v_cmp_gt_u32_e32 vcc, 64, v0
	s_and_saveexec_b64 s[0:1], vcc
	s_cbranch_execz .LBB13_10
.LBB13_12:
	v_mov_b32_e32 v1, 0
	v_lshl_add_u64 v[0:1], v[0:1], 1, s[4:5]
	v_mov_b32_e32 v2, 0xffffff00
	global_store_short v[0:1], v2, off
	s_endpgm
	.section	.rodata,"a",@progbits
	.p2align	6, 0x0
	.amdhsa_kernel _ZN7rocprim17ROCPRIM_304000_NS6detail31init_lookback_scan_state_kernelINS1_19lookback_scan_stateIaLb1ELb1EEEEEvT_jjPNS5_10value_typeE
		.amdhsa_group_segment_fixed_size 0
		.amdhsa_private_segment_fixed_size 0
		.amdhsa_kernarg_size 280
		.amdhsa_user_sgpr_count 2
		.amdhsa_user_sgpr_dispatch_ptr 0
		.amdhsa_user_sgpr_queue_ptr 0
		.amdhsa_user_sgpr_kernarg_segment_ptr 1
		.amdhsa_user_sgpr_dispatch_id 0
		.amdhsa_user_sgpr_kernarg_preload_length 0
		.amdhsa_user_sgpr_kernarg_preload_offset 0
		.amdhsa_user_sgpr_private_segment_size 0
		.amdhsa_uses_dynamic_stack 0
		.amdhsa_enable_private_segment 0
		.amdhsa_system_sgpr_workgroup_id_x 1
		.amdhsa_system_sgpr_workgroup_id_y 0
		.amdhsa_system_sgpr_workgroup_id_z 0
		.amdhsa_system_sgpr_workgroup_info 0
		.amdhsa_system_vgpr_workitem_id 0
		.amdhsa_next_free_vgpr 6
		.amdhsa_next_free_sgpr 14
		.amdhsa_accum_offset 8
		.amdhsa_reserve_vcc 1
		.amdhsa_float_round_mode_32 0
		.amdhsa_float_round_mode_16_64 0
		.amdhsa_float_denorm_mode_32 3
		.amdhsa_float_denorm_mode_16_64 3
		.amdhsa_dx10_clamp 1
		.amdhsa_ieee_mode 1
		.amdhsa_fp16_overflow 0
		.amdhsa_tg_split 0
		.amdhsa_exception_fp_ieee_invalid_op 0
		.amdhsa_exception_fp_denorm_src 0
		.amdhsa_exception_fp_ieee_div_zero 0
		.amdhsa_exception_fp_ieee_overflow 0
		.amdhsa_exception_fp_ieee_underflow 0
		.amdhsa_exception_fp_ieee_inexact 0
		.amdhsa_exception_int_div_zero 0
	.end_amdhsa_kernel
	.section	.text._ZN7rocprim17ROCPRIM_304000_NS6detail31init_lookback_scan_state_kernelINS1_19lookback_scan_stateIaLb1ELb1EEEEEvT_jjPNS5_10value_typeE,"axG",@progbits,_ZN7rocprim17ROCPRIM_304000_NS6detail31init_lookback_scan_state_kernelINS1_19lookback_scan_stateIaLb1ELb1EEEEEvT_jjPNS5_10value_typeE,comdat
.Lfunc_end13:
	.size	_ZN7rocprim17ROCPRIM_304000_NS6detail31init_lookback_scan_state_kernelINS1_19lookback_scan_stateIaLb1ELb1EEEEEvT_jjPNS5_10value_typeE, .Lfunc_end13-_ZN7rocprim17ROCPRIM_304000_NS6detail31init_lookback_scan_state_kernelINS1_19lookback_scan_stateIaLb1ELb1EEEEEvT_jjPNS5_10value_typeE
                                        ; -- End function
	.section	.AMDGPU.csdata,"",@progbits
; Kernel info:
; codeLenInByte = 300
; NumSgprs: 20
; NumVgprs: 6
; NumAgprs: 0
; TotalNumVgprs: 6
; ScratchSize: 0
; MemoryBound: 0
; FloatMode: 240
; IeeeMode: 1
; LDSByteSize: 0 bytes/workgroup (compile time only)
; SGPRBlocks: 2
; VGPRBlocks: 0
; NumSGPRsForWavesPerEU: 20
; NumVGPRsForWavesPerEU: 6
; AccumOffset: 8
; Occupancy: 8
; WaveLimiterHint : 0
; COMPUTE_PGM_RSRC2:SCRATCH_EN: 0
; COMPUTE_PGM_RSRC2:USER_SGPR: 2
; COMPUTE_PGM_RSRC2:TRAP_HANDLER: 0
; COMPUTE_PGM_RSRC2:TGID_X_EN: 1
; COMPUTE_PGM_RSRC2:TGID_Y_EN: 0
; COMPUTE_PGM_RSRC2:TGID_Z_EN: 0
; COMPUTE_PGM_RSRC2:TIDIG_COMP_CNT: 0
; COMPUTE_PGM_RSRC3_GFX90A:ACCUM_OFFSET: 1
; COMPUTE_PGM_RSRC3_GFX90A:TG_SPLIT: 0
	.section	.text._ZN7rocprim17ROCPRIM_304000_NS6detail31init_lookback_scan_state_kernelINS1_19lookback_scan_stateIaLb0ELb1EEEEEvT_jjPNS5_10value_typeE,"axG",@progbits,_ZN7rocprim17ROCPRIM_304000_NS6detail31init_lookback_scan_state_kernelINS1_19lookback_scan_stateIaLb0ELb1EEEEEvT_jjPNS5_10value_typeE,comdat
	.protected	_ZN7rocprim17ROCPRIM_304000_NS6detail31init_lookback_scan_state_kernelINS1_19lookback_scan_stateIaLb0ELb1EEEEEvT_jjPNS5_10value_typeE ; -- Begin function _ZN7rocprim17ROCPRIM_304000_NS6detail31init_lookback_scan_state_kernelINS1_19lookback_scan_stateIaLb0ELb1EEEEEvT_jjPNS5_10value_typeE
	.globl	_ZN7rocprim17ROCPRIM_304000_NS6detail31init_lookback_scan_state_kernelINS1_19lookback_scan_stateIaLb0ELb1EEEEEvT_jjPNS5_10value_typeE
	.p2align	8
	.type	_ZN7rocprim17ROCPRIM_304000_NS6detail31init_lookback_scan_state_kernelINS1_19lookback_scan_stateIaLb0ELb1EEEEEvT_jjPNS5_10value_typeE,@function
_ZN7rocprim17ROCPRIM_304000_NS6detail31init_lookback_scan_state_kernelINS1_19lookback_scan_stateIaLb0ELb1EEEEEvT_jjPNS5_10value_typeE: ; @_ZN7rocprim17ROCPRIM_304000_NS6detail31init_lookback_scan_state_kernelINS1_19lookback_scan_stateIaLb0ELb1EEEEEvT_jjPNS5_10value_typeE
; %bb.0:
	s_load_dword s3, s[0:1], 0x24
	s_load_dwordx2 s[8:9], s[0:1], 0x10
	s_load_dwordx4 s[4:7], s[0:1], 0x0
	s_waitcnt lgkmcnt(0)
	s_and_b32 s0, s3, 0xffff
	s_mul_i32 s2, s2, s0
	s_cmp_eq_u64 s[8:9], 0
	v_add_u32_e32 v0, s2, v0
	s_cbranch_scc1 .LBB14_7
; %bb.1:
	s_cmp_lt_u32 s7, s6
	s_cselect_b32 s0, s7, 0
	s_mov_b32 s3, 0
	v_cmp_eq_u32_e32 vcc, s0, v0
	s_and_saveexec_b64 s[0:1], vcc
	s_cbranch_execz .LBB14_6
; %bb.2:
	s_add_i32 s2, s7, 64
	s_lshl_b64 s[2:3], s[2:3], 1
	s_add_u32 s2, s4, s2
	s_addc_u32 s3, s5, s3
	v_mov_b32_e32 v2, 0
	global_load_ushort v1, v2, s[2:3] sc1
	s_movk_i32 s7, 0xff
	s_waitcnt vmcnt(0)
	v_cmp_lt_u16_e32 vcc, s7, v1
	s_cbranch_vccnz .LBB14_5
; %bb.3:
	s_movk_i32 s7, 0x100
.LBB14_4:                               ; =>This Inner Loop Header: Depth=1
	global_load_ushort v1, v2, s[2:3] sc1
	s_waitcnt vmcnt(0)
	v_cmp_gt_u16_e32 vcc, s7, v1
	s_cbranch_vccnz .LBB14_4
.LBB14_5:
	v_mov_b32_e32 v2, 0
	global_store_byte v2, v1, s[8:9]
.LBB14_6:
	s_or_b64 exec, exec, s[0:1]
.LBB14_7:
	v_cmp_gt_u32_e32 vcc, s6, v0
	s_and_saveexec_b64 s[0:1], vcc
	s_cbranch_execnz .LBB14_10
; %bb.8:
	s_or_b64 exec, exec, s[0:1]
	v_cmp_gt_u32_e32 vcc, 64, v0
	s_and_saveexec_b64 s[0:1], vcc
	s_cbranch_execnz .LBB14_11
.LBB14_9:
	s_endpgm
.LBB14_10:
	v_add_u32_e32 v2, 64, v0
	v_mov_b32_e32 v3, 0
	v_lshl_add_u64 v[4:5], v[2:3], 1, s[4:5]
	global_store_short v[4:5], v3, off
	s_or_b64 exec, exec, s[0:1]
	v_cmp_gt_u32_e32 vcc, 64, v0
	s_and_saveexec_b64 s[0:1], vcc
	s_cbranch_execz .LBB14_9
.LBB14_11:
	v_mov_b32_e32 v1, 0
	v_lshl_add_u64 v[0:1], v[0:1], 1, s[4:5]
	v_mov_b32_e32 v2, 0xffffff00
	global_store_short v[0:1], v2, off
	s_endpgm
	.section	.rodata,"a",@progbits
	.p2align	6, 0x0
	.amdhsa_kernel _ZN7rocprim17ROCPRIM_304000_NS6detail31init_lookback_scan_state_kernelINS1_19lookback_scan_stateIaLb0ELb1EEEEEvT_jjPNS5_10value_typeE
		.amdhsa_group_segment_fixed_size 0
		.amdhsa_private_segment_fixed_size 0
		.amdhsa_kernarg_size 280
		.amdhsa_user_sgpr_count 2
		.amdhsa_user_sgpr_dispatch_ptr 0
		.amdhsa_user_sgpr_queue_ptr 0
		.amdhsa_user_sgpr_kernarg_segment_ptr 1
		.amdhsa_user_sgpr_dispatch_id 0
		.amdhsa_user_sgpr_kernarg_preload_length 0
		.amdhsa_user_sgpr_kernarg_preload_offset 0
		.amdhsa_user_sgpr_private_segment_size 0
		.amdhsa_uses_dynamic_stack 0
		.amdhsa_enable_private_segment 0
		.amdhsa_system_sgpr_workgroup_id_x 1
		.amdhsa_system_sgpr_workgroup_id_y 0
		.amdhsa_system_sgpr_workgroup_id_z 0
		.amdhsa_system_sgpr_workgroup_info 0
		.amdhsa_system_vgpr_workitem_id 0
		.amdhsa_next_free_vgpr 6
		.amdhsa_next_free_sgpr 10
		.amdhsa_accum_offset 8
		.amdhsa_reserve_vcc 1
		.amdhsa_float_round_mode_32 0
		.amdhsa_float_round_mode_16_64 0
		.amdhsa_float_denorm_mode_32 3
		.amdhsa_float_denorm_mode_16_64 3
		.amdhsa_dx10_clamp 1
		.amdhsa_ieee_mode 1
		.amdhsa_fp16_overflow 0
		.amdhsa_tg_split 0
		.amdhsa_exception_fp_ieee_invalid_op 0
		.amdhsa_exception_fp_denorm_src 0
		.amdhsa_exception_fp_ieee_div_zero 0
		.amdhsa_exception_fp_ieee_overflow 0
		.amdhsa_exception_fp_ieee_underflow 0
		.amdhsa_exception_fp_ieee_inexact 0
		.amdhsa_exception_int_div_zero 0
	.end_amdhsa_kernel
	.section	.text._ZN7rocprim17ROCPRIM_304000_NS6detail31init_lookback_scan_state_kernelINS1_19lookback_scan_stateIaLb0ELb1EEEEEvT_jjPNS5_10value_typeE,"axG",@progbits,_ZN7rocprim17ROCPRIM_304000_NS6detail31init_lookback_scan_state_kernelINS1_19lookback_scan_stateIaLb0ELb1EEEEEvT_jjPNS5_10value_typeE,comdat
.Lfunc_end14:
	.size	_ZN7rocprim17ROCPRIM_304000_NS6detail31init_lookback_scan_state_kernelINS1_19lookback_scan_stateIaLb0ELb1EEEEEvT_jjPNS5_10value_typeE, .Lfunc_end14-_ZN7rocprim17ROCPRIM_304000_NS6detail31init_lookback_scan_state_kernelINS1_19lookback_scan_stateIaLb0ELb1EEEEEvT_jjPNS5_10value_typeE
                                        ; -- End function
	.section	.AMDGPU.csdata,"",@progbits
; Kernel info:
; codeLenInByte = 264
; NumSgprs: 16
; NumVgprs: 6
; NumAgprs: 0
; TotalNumVgprs: 6
; ScratchSize: 0
; MemoryBound: 0
; FloatMode: 240
; IeeeMode: 1
; LDSByteSize: 0 bytes/workgroup (compile time only)
; SGPRBlocks: 1
; VGPRBlocks: 0
; NumSGPRsForWavesPerEU: 16
; NumVGPRsForWavesPerEU: 6
; AccumOffset: 8
; Occupancy: 8
; WaveLimiterHint : 0
; COMPUTE_PGM_RSRC2:SCRATCH_EN: 0
; COMPUTE_PGM_RSRC2:USER_SGPR: 2
; COMPUTE_PGM_RSRC2:TRAP_HANDLER: 0
; COMPUTE_PGM_RSRC2:TGID_X_EN: 1
; COMPUTE_PGM_RSRC2:TGID_Y_EN: 0
; COMPUTE_PGM_RSRC2:TGID_Z_EN: 0
; COMPUTE_PGM_RSRC2:TIDIG_COMP_CNT: 0
; COMPUTE_PGM_RSRC3_GFX90A:ACCUM_OFFSET: 1
; COMPUTE_PGM_RSRC3_GFX90A:TG_SPLIT: 0
	.section	.text._ZN7rocprim17ROCPRIM_304000_NS6detail20lookback_scan_kernelILNS1_25lookback_scan_determinismE0ELb0ENS1_19wrapped_scan_configINS0_14default_configEaEEPKaPaSt4plusIaEaaNS1_19lookback_scan_stateIaLb1ELb1EEEEEvT2_T3_mT5_T4_T7_jPT6_SK_bb,"axG",@progbits,_ZN7rocprim17ROCPRIM_304000_NS6detail20lookback_scan_kernelILNS1_25lookback_scan_determinismE0ELb0ENS1_19wrapped_scan_configINS0_14default_configEaEEPKaPaSt4plusIaEaaNS1_19lookback_scan_stateIaLb1ELb1EEEEEvT2_T3_mT5_T4_T7_jPT6_SK_bb,comdat
	.protected	_ZN7rocprim17ROCPRIM_304000_NS6detail20lookback_scan_kernelILNS1_25lookback_scan_determinismE0ELb0ENS1_19wrapped_scan_configINS0_14default_configEaEEPKaPaSt4plusIaEaaNS1_19lookback_scan_stateIaLb1ELb1EEEEEvT2_T3_mT5_T4_T7_jPT6_SK_bb ; -- Begin function _ZN7rocprim17ROCPRIM_304000_NS6detail20lookback_scan_kernelILNS1_25lookback_scan_determinismE0ELb0ENS1_19wrapped_scan_configINS0_14default_configEaEEPKaPaSt4plusIaEaaNS1_19lookback_scan_stateIaLb1ELb1EEEEEvT2_T3_mT5_T4_T7_jPT6_SK_bb
	.globl	_ZN7rocprim17ROCPRIM_304000_NS6detail20lookback_scan_kernelILNS1_25lookback_scan_determinismE0ELb0ENS1_19wrapped_scan_configINS0_14default_configEaEEPKaPaSt4plusIaEaaNS1_19lookback_scan_stateIaLb1ELb1EEEEEvT2_T3_mT5_T4_T7_jPT6_SK_bb
	.p2align	8
	.type	_ZN7rocprim17ROCPRIM_304000_NS6detail20lookback_scan_kernelILNS1_25lookback_scan_determinismE0ELb0ENS1_19wrapped_scan_configINS0_14default_configEaEEPKaPaSt4plusIaEaaNS1_19lookback_scan_stateIaLb1ELb1EEEEEvT2_T3_mT5_T4_T7_jPT6_SK_bb,@function
_ZN7rocprim17ROCPRIM_304000_NS6detail20lookback_scan_kernelILNS1_25lookback_scan_determinismE0ELb0ENS1_19wrapped_scan_configINS0_14default_configEaEEPKaPaSt4plusIaEaaNS1_19lookback_scan_stateIaLb1ELb1EEEEEvT2_T3_mT5_T4_T7_jPT6_SK_bb: ; @_ZN7rocprim17ROCPRIM_304000_NS6detail20lookback_scan_kernelILNS1_25lookback_scan_determinismE0ELb0ENS1_19wrapped_scan_configINS0_14default_configEaEEPKaPaSt4plusIaEaaNS1_19lookback_scan_stateIaLb1ELb1EEEEEvT2_T3_mT5_T4_T7_jPT6_SK_bb
; %bb.0:
	s_endpgm
	.section	.rodata,"a",@progbits
	.p2align	6, 0x0
	.amdhsa_kernel _ZN7rocprim17ROCPRIM_304000_NS6detail20lookback_scan_kernelILNS1_25lookback_scan_determinismE0ELb0ENS1_19wrapped_scan_configINS0_14default_configEaEEPKaPaSt4plusIaEaaNS1_19lookback_scan_stateIaLb1ELb1EEEEEvT2_T3_mT5_T4_T7_jPT6_SK_bb
		.amdhsa_group_segment_fixed_size 0
		.amdhsa_private_segment_fixed_size 0
		.amdhsa_kernarg_size 68
		.amdhsa_user_sgpr_count 2
		.amdhsa_user_sgpr_dispatch_ptr 0
		.amdhsa_user_sgpr_queue_ptr 0
		.amdhsa_user_sgpr_kernarg_segment_ptr 1
		.amdhsa_user_sgpr_dispatch_id 0
		.amdhsa_user_sgpr_kernarg_preload_length 0
		.amdhsa_user_sgpr_kernarg_preload_offset 0
		.amdhsa_user_sgpr_private_segment_size 0
		.amdhsa_uses_dynamic_stack 0
		.amdhsa_enable_private_segment 0
		.amdhsa_system_sgpr_workgroup_id_x 1
		.amdhsa_system_sgpr_workgroup_id_y 0
		.amdhsa_system_sgpr_workgroup_id_z 0
		.amdhsa_system_sgpr_workgroup_info 0
		.amdhsa_system_vgpr_workitem_id 0
		.amdhsa_next_free_vgpr 1
		.amdhsa_next_free_sgpr 0
		.amdhsa_accum_offset 4
		.amdhsa_reserve_vcc 0
		.amdhsa_float_round_mode_32 0
		.amdhsa_float_round_mode_16_64 0
		.amdhsa_float_denorm_mode_32 3
		.amdhsa_float_denorm_mode_16_64 3
		.amdhsa_dx10_clamp 1
		.amdhsa_ieee_mode 1
		.amdhsa_fp16_overflow 0
		.amdhsa_tg_split 0
		.amdhsa_exception_fp_ieee_invalid_op 0
		.amdhsa_exception_fp_denorm_src 0
		.amdhsa_exception_fp_ieee_div_zero 0
		.amdhsa_exception_fp_ieee_overflow 0
		.amdhsa_exception_fp_ieee_underflow 0
		.amdhsa_exception_fp_ieee_inexact 0
		.amdhsa_exception_int_div_zero 0
	.end_amdhsa_kernel
	.section	.text._ZN7rocprim17ROCPRIM_304000_NS6detail20lookback_scan_kernelILNS1_25lookback_scan_determinismE0ELb0ENS1_19wrapped_scan_configINS0_14default_configEaEEPKaPaSt4plusIaEaaNS1_19lookback_scan_stateIaLb1ELb1EEEEEvT2_T3_mT5_T4_T7_jPT6_SK_bb,"axG",@progbits,_ZN7rocprim17ROCPRIM_304000_NS6detail20lookback_scan_kernelILNS1_25lookback_scan_determinismE0ELb0ENS1_19wrapped_scan_configINS0_14default_configEaEEPKaPaSt4plusIaEaaNS1_19lookback_scan_stateIaLb1ELb1EEEEEvT2_T3_mT5_T4_T7_jPT6_SK_bb,comdat
.Lfunc_end15:
	.size	_ZN7rocprim17ROCPRIM_304000_NS6detail20lookback_scan_kernelILNS1_25lookback_scan_determinismE0ELb0ENS1_19wrapped_scan_configINS0_14default_configEaEEPKaPaSt4plusIaEaaNS1_19lookback_scan_stateIaLb1ELb1EEEEEvT2_T3_mT5_T4_T7_jPT6_SK_bb, .Lfunc_end15-_ZN7rocprim17ROCPRIM_304000_NS6detail20lookback_scan_kernelILNS1_25lookback_scan_determinismE0ELb0ENS1_19wrapped_scan_configINS0_14default_configEaEEPKaPaSt4plusIaEaaNS1_19lookback_scan_stateIaLb1ELb1EEEEEvT2_T3_mT5_T4_T7_jPT6_SK_bb
                                        ; -- End function
	.section	.AMDGPU.csdata,"",@progbits
; Kernel info:
; codeLenInByte = 4
; NumSgprs: 6
; NumVgprs: 0
; NumAgprs: 0
; TotalNumVgprs: 0
; ScratchSize: 0
; MemoryBound: 0
; FloatMode: 240
; IeeeMode: 1
; LDSByteSize: 0 bytes/workgroup (compile time only)
; SGPRBlocks: 0
; VGPRBlocks: 0
; NumSGPRsForWavesPerEU: 6
; NumVGPRsForWavesPerEU: 1
; AccumOffset: 4
; Occupancy: 8
; WaveLimiterHint : 0
; COMPUTE_PGM_RSRC2:SCRATCH_EN: 0
; COMPUTE_PGM_RSRC2:USER_SGPR: 2
; COMPUTE_PGM_RSRC2:TRAP_HANDLER: 0
; COMPUTE_PGM_RSRC2:TGID_X_EN: 1
; COMPUTE_PGM_RSRC2:TGID_Y_EN: 0
; COMPUTE_PGM_RSRC2:TGID_Z_EN: 0
; COMPUTE_PGM_RSRC2:TIDIG_COMP_CNT: 0
; COMPUTE_PGM_RSRC3_GFX90A:ACCUM_OFFSET: 0
; COMPUTE_PGM_RSRC3_GFX90A:TG_SPLIT: 0
	.section	.text._ZN7rocprim17ROCPRIM_304000_NS6detail20lookback_scan_kernelILNS1_25lookback_scan_determinismE0ELb0ENS1_19wrapped_scan_configINS0_14default_configEaEEPKaPaSt4plusIaEaaNS1_19lookback_scan_stateIaLb0ELb1EEEEEvT2_T3_mT5_T4_T7_jPT6_SK_bb,"axG",@progbits,_ZN7rocprim17ROCPRIM_304000_NS6detail20lookback_scan_kernelILNS1_25lookback_scan_determinismE0ELb0ENS1_19wrapped_scan_configINS0_14default_configEaEEPKaPaSt4plusIaEaaNS1_19lookback_scan_stateIaLb0ELb1EEEEEvT2_T3_mT5_T4_T7_jPT6_SK_bb,comdat
	.protected	_ZN7rocprim17ROCPRIM_304000_NS6detail20lookback_scan_kernelILNS1_25lookback_scan_determinismE0ELb0ENS1_19wrapped_scan_configINS0_14default_configEaEEPKaPaSt4plusIaEaaNS1_19lookback_scan_stateIaLb0ELb1EEEEEvT2_T3_mT5_T4_T7_jPT6_SK_bb ; -- Begin function _ZN7rocprim17ROCPRIM_304000_NS6detail20lookback_scan_kernelILNS1_25lookback_scan_determinismE0ELb0ENS1_19wrapped_scan_configINS0_14default_configEaEEPKaPaSt4plusIaEaaNS1_19lookback_scan_stateIaLb0ELb1EEEEEvT2_T3_mT5_T4_T7_jPT6_SK_bb
	.globl	_ZN7rocprim17ROCPRIM_304000_NS6detail20lookback_scan_kernelILNS1_25lookback_scan_determinismE0ELb0ENS1_19wrapped_scan_configINS0_14default_configEaEEPKaPaSt4plusIaEaaNS1_19lookback_scan_stateIaLb0ELb1EEEEEvT2_T3_mT5_T4_T7_jPT6_SK_bb
	.p2align	8
	.type	_ZN7rocprim17ROCPRIM_304000_NS6detail20lookback_scan_kernelILNS1_25lookback_scan_determinismE0ELb0ENS1_19wrapped_scan_configINS0_14default_configEaEEPKaPaSt4plusIaEaaNS1_19lookback_scan_stateIaLb0ELb1EEEEEvT2_T3_mT5_T4_T7_jPT6_SK_bb,@function
_ZN7rocprim17ROCPRIM_304000_NS6detail20lookback_scan_kernelILNS1_25lookback_scan_determinismE0ELb0ENS1_19wrapped_scan_configINS0_14default_configEaEEPKaPaSt4plusIaEaaNS1_19lookback_scan_stateIaLb0ELb1EEEEEvT2_T3_mT5_T4_T7_jPT6_SK_bb: ; @_ZN7rocprim17ROCPRIM_304000_NS6detail20lookback_scan_kernelILNS1_25lookback_scan_determinismE0ELb0ENS1_19wrapped_scan_configINS0_14default_configEaEEPKaPaSt4plusIaEaaNS1_19lookback_scan_stateIaLb0ELb1EEEEEvT2_T3_mT5_T4_T7_jPT6_SK_bb
; %bb.0:
	s_load_dword s3, s[0:1], 0x28
	s_load_dwordx2 s[4:5], s[0:1], 0x10
	s_load_dwordx4 s[12:15], s[0:1], 0x0
	s_mul_i32 s22, s2, 0x1800
	s_waitcnt lgkmcnt(0)
	s_add_i32 s3, s3, -1
	s_mul_i32 s6, s3, 0x1800
	s_sub_u32 s20, s4, s6
	s_subb_u32 s21, s5, 0
	s_cmp_lg_u32 s2, s3
	s_cselect_b64 s[16:17], -1, 0
	s_add_u32 s6, s12, s22
	s_addc_u32 s7, s13, 0
	s_mov_b64 s[4:5], -1
	s_and_b64 vcc, exec, s[16:17]
	s_cbranch_vccz .LBB16_2
; %bb.1:
	v_mov_b32_e32 v1, 0
	v_lshl_add_u64 v[2:3], s[6:7], 0, v[0:1]
	s_movk_i32 s3, 0x1000
	v_add_co_u32_e32 v2, vcc, s3, v2
	global_load_ubyte v1, v0, s[6:7]
	global_load_ubyte v4, v0, s[6:7] offset:256
	global_load_ubyte v5, v0, s[6:7] offset:512
	;; [unrolled: 1-line block ×15, first 2 shown]
	v_addc_co_u32_e32 v3, vcc, 0, v3, vcc
	global_load_ubyte v19, v[2:3], off
	global_load_ubyte v20, v[2:3], off offset:256
	global_load_ubyte v21, v[2:3], off offset:512
	;; [unrolled: 1-line block ×7, first 2 shown]
	s_mov_b64 s[4:5], 0
	s_waitcnt vmcnt(23)
	ds_write_b8 v0, v1
	s_waitcnt vmcnt(22)
	ds_write_b8 v0, v4 offset:256
	s_waitcnt vmcnt(21)
	ds_write_b8 v0, v5 offset:512
	;; [unrolled: 2-line block ×23, first 2 shown]
	s_waitcnt lgkmcnt(0)
	s_barrier
.LBB16_2:
	s_andn2_b64 vcc, exec, s[4:5]
	v_cmp_gt_u32_e64 s[4:5], s20, v0
	s_cbranch_vccnz .LBB16_52
; %bb.3:
	v_mov_b32_e32 v1, 0
	global_load_ubyte v4, v1, s[6:7]
	v_lshl_add_u64 v[2:3], s[6:7], 0, v[0:1]
	s_waitcnt vmcnt(0)
	v_mov_b32_e32 v1, v4
	s_and_saveexec_b64 s[6:7], s[4:5]
	s_cbranch_execz .LBB16_5
; %bb.4:
	global_load_ubyte v1, v[2:3], off
.LBB16_5:
	s_or_b64 exec, exec, s[6:7]
	v_or_b32_e32 v5, 0x100, v0
	v_cmp_gt_u32_e32 vcc, s20, v5
	v_mov_b32_e32 v5, v4
	s_and_saveexec_b64 s[4:5], vcc
	s_cbranch_execz .LBB16_7
; %bb.6:
	global_load_ubyte v5, v[2:3], off offset:256
.LBB16_7:
	s_or_b64 exec, exec, s[4:5]
	v_or_b32_e32 v6, 0x200, v0
	v_cmp_gt_u32_e32 vcc, s20, v6
	v_mov_b32_e32 v6, v4
	s_and_saveexec_b64 s[4:5], vcc
	s_cbranch_execz .LBB16_9
; %bb.8:
	global_load_ubyte v6, v[2:3], off offset:512
.LBB16_9:
	;; [unrolled: 9-line block ×15, first 2 shown]
	s_or_b64 exec, exec, s[4:5]
	v_or_b32_e32 v20, 0x1000, v0
	v_cmp_gt_u32_e32 vcc, s20, v20
	v_mov_b32_e32 v20, v4
	s_and_saveexec_b64 s[4:5], vcc
	s_cbranch_execz .LBB16_37
; %bb.36:
	v_add_co_u32_e32 v20, vcc, 0x1000, v2
	s_nop 1
	v_addc_co_u32_e32 v21, vcc, 0, v3, vcc
	global_load_ubyte v20, v[20:21], off
.LBB16_37:
	s_or_b64 exec, exec, s[4:5]
	v_or_b32_e32 v21, 0x1100, v0
	v_cmp_gt_u32_e32 vcc, s20, v21
	v_mov_b32_e32 v21, v4
	s_and_saveexec_b64 s[4:5], vcc
	s_cbranch_execz .LBB16_39
; %bb.38:
	v_add_co_u32_e32 v22, vcc, 0x1000, v2
	s_nop 1
	v_addc_co_u32_e32 v23, vcc, 0, v3, vcc
	global_load_ubyte v21, v[22:23], off offset:256
.LBB16_39:
	s_or_b64 exec, exec, s[4:5]
	v_or_b32_e32 v22, 0x1200, v0
	v_cmp_gt_u32_e32 vcc, s20, v22
	v_mov_b32_e32 v22, v4
	s_and_saveexec_b64 s[4:5], vcc
	s_cbranch_execz .LBB16_41
; %bb.40:
	v_add_co_u32_e32 v22, vcc, 0x1000, v2
	s_nop 1
	v_addc_co_u32_e32 v23, vcc, 0, v3, vcc
	global_load_ubyte v22, v[22:23], off offset:512
.LBB16_41:
	;; [unrolled: 12-line block ×6, first 2 shown]
	s_or_b64 exec, exec, s[4:5]
	v_or_b32_e32 v27, 0x1700, v0
	v_cmp_gt_u32_e32 vcc, s20, v27
	s_and_saveexec_b64 s[4:5], vcc
	s_cbranch_execz .LBB16_51
; %bb.50:
	v_add_co_u32_e32 v2, vcc, 0x1000, v2
	s_nop 1
	v_addc_co_u32_e32 v3, vcc, 0, v3, vcc
	global_load_ubyte v4, v[2:3], off offset:1792
.LBB16_51:
	s_or_b64 exec, exec, s[4:5]
	s_waitcnt vmcnt(0)
	ds_write_b8 v0, v1
	ds_write_b8 v0, v5 offset:256
	ds_write_b8 v0, v6 offset:512
	;; [unrolled: 1-line block ×23, first 2 shown]
	s_waitcnt lgkmcnt(0)
	s_barrier
.LBB16_52:
	v_mul_u32_u24_e32 v14, 24, v0
	ds_read2_b64 v[2:5], v14 offset1:1
	ds_read_b64 v[6:7], v14 offset:16
	s_load_dwordx2 s[12:13], s[0:1], 0x20
	s_cmp_lg_u32 s2, 0
	v_mbcnt_lo_u32_b32 v22, -1, 0
	s_waitcnt lgkmcnt(0)
	v_lshrrev_b32_e32 v19, 8, v2
	v_lshrrev_b32_e32 v18, 8, v3
	;; [unrolled: 1-line block ×7, first 2 shown]
	v_or_b32_e32 v21, 63, v0
	s_barrier
	s_cbranch_scc0 .LBB16_79
; %bb.53:
	v_add_u16_e32 v8, v19, v2
	v_add_u16_sdwa v8, v8, v2 dst_sel:DWORD dst_unused:UNUSED_PAD src0_sel:DWORD src1_sel:WORD_1
	v_add_u16_sdwa v8, v8, v2 dst_sel:DWORD dst_unused:UNUSED_PAD src0_sel:DWORD src1_sel:BYTE_3
	v_add_u16_e32 v8, v8, v3
	v_add_u16_e32 v8, v8, v18
	v_add_u16_sdwa v8, v8, v3 dst_sel:DWORD dst_unused:UNUSED_PAD src0_sel:DWORD src1_sel:WORD_1
	v_add_u16_sdwa v8, v8, v3 dst_sel:DWORD dst_unused:UNUSED_PAD src0_sel:DWORD src1_sel:BYTE_3
	v_add_u16_e32 v8, v8, v4
	;; [unrolled: 4-line block ×5, first 2 shown]
	v_add_u16_e32 v8, v8, v1
	v_add_u16_sdwa v8, v8, v7 dst_sel:DWORD dst_unused:UNUSED_PAD src0_sel:DWORD src1_sel:WORD_1
	v_add_u16_sdwa v8, v8, v7 dst_sel:DWORD dst_unused:UNUSED_PAD src0_sel:DWORD src1_sel:BYTE_3
	v_mbcnt_hi_u32_b32 v9, -1, v22
	v_and_b32_e32 v10, 15, v9
	v_and_b32_e32 v11, 0xff, v8
	v_cmp_ne_u32_e32 vcc, 0, v10
	s_nop 0
	v_mov_b32_dpp v11, v11 row_shr:1 row_mask:0xf bank_mask:0xf
	v_cndmask_b32_e32 v11, 0, v11, vcc
	v_add_u16_e32 v8, v11, v8
	v_and_b32_e32 v11, 0xff, v8
	v_cmp_lt_u32_e32 vcc, 1, v10
	s_nop 0
	v_mov_b32_dpp v11, v11 row_shr:2 row_mask:0xf bank_mask:0xf
	v_cndmask_b32_e32 v11, 0, v11, vcc
	v_add_u16_e32 v8, v8, v11
	v_and_b32_e32 v11, 0xff, v8
	v_cmp_lt_u32_e32 vcc, 3, v10
	;; [unrolled: 6-line block ×3, first 2 shown]
	s_nop 0
	v_mov_b32_dpp v11, v11 row_shr:8 row_mask:0xf bank_mask:0xf
	v_cndmask_b32_e32 v10, 0, v11, vcc
	v_add_u16_e32 v8, v8, v10
	v_and_b32_e32 v10, 0xff, v8
	v_and_b32_e32 v11, 16, v9
	v_cmp_ne_u32_e32 vcc, 0, v11
	v_mov_b32_dpp v10, v10 row_bcast:15 row_mask:0xf bank_mask:0xf
	s_nop 0
	v_cndmask_b32_e32 v10, 0, v10, vcc
	v_add_u16_e32 v8, v8, v10
	v_and_b32_e32 v10, 0xff, v8
	v_cmp_lt_u32_e32 vcc, 31, v9
	s_nop 0
	v_mov_b32_dpp v10, v10 row_bcast:31 row_mask:0xf bank_mask:0xf
	v_cndmask_b32_e32 v10, 0, v10, vcc
	v_add_u16_e32 v8, v8, v10
	v_cmp_eq_u32_e32 vcc, v21, v0
	s_and_saveexec_b64 s[4:5], vcc
	s_cbranch_execz .LBB16_55
; %bb.54:
	ds_write_b8 v20, v8
.LBB16_55:
	s_or_b64 exec, exec, s[4:5]
	v_cmp_gt_u32_e32 vcc, 4, v0
	s_waitcnt lgkmcnt(0)
	s_barrier
	s_and_saveexec_b64 s[4:5], vcc
	s_cbranch_execz .LBB16_57
; %bb.56:
	ds_read_u8 v10, v0
	v_and_b32_e32 v11, 3, v9
	v_cmp_ne_u32_e32 vcc, 0, v11
	s_waitcnt lgkmcnt(0)
	v_and_b32_e32 v12, 0xff, v10
	s_nop 1
	v_mov_b32_dpp v12, v12 row_shr:1 row_mask:0xf bank_mask:0xf
	v_cndmask_b32_e32 v12, 0, v12, vcc
	v_add_u16_e32 v10, v12, v10
	v_and_b32_e32 v12, 0xff, v10
	v_cmp_lt_u32_e32 vcc, 1, v11
	s_nop 0
	v_mov_b32_dpp v12, v12 row_shr:2 row_mask:0xf bank_mask:0xf
	v_cndmask_b32_e32 v11, 0, v12, vcc
	v_add_u16_e32 v10, v10, v11
	ds_write_b8 v0, v10
.LBB16_57:
	s_or_b64 exec, exec, s[4:5]
	v_cmp_gt_u32_e32 vcc, 64, v0
	v_cmp_lt_u32_e64 s[4:5], 63, v0
	s_waitcnt lgkmcnt(0)
	s_barrier
	s_waitcnt lgkmcnt(0)
                                        ; implicit-def: $vgpr23
	s_and_saveexec_b64 s[6:7], s[4:5]
	s_cbranch_execz .LBB16_59
; %bb.58:
	v_add_u32_e32 v10, -1, v20
	ds_read_u8 v23, v10
	s_waitcnt lgkmcnt(0)
	v_add_u16_e32 v8, v23, v8
.LBB16_59:
	s_or_b64 exec, exec, s[6:7]
	v_add_u32_e32 v10, -1, v9
	v_and_b32_e32 v11, 64, v9
	v_cmp_lt_i32_e64 s[4:5], v10, v11
	v_and_b32_e32 v8, 0xff, v8
	s_nop 0
	v_cndmask_b32_e64 v10, v10, v9, s[4:5]
	v_lshlrev_b32_e32 v10, 2, v10
	ds_bpermute_b32 v24, v10, v8
	v_cmp_eq_u32_e64 s[4:5], 0, v9
	s_and_saveexec_b64 s[18:19], vcc
	s_cbranch_execz .LBB16_78
; %bb.60:
	v_mov_b32_e32 v11, 0
	ds_read_u8 v25, v11 offset:3
	s_and_saveexec_b64 s[6:7], s[4:5]
	s_cbranch_execz .LBB16_62
; %bb.61:
	s_add_i32 s8, s2, 64
	s_mov_b32 s9, 0
	s_lshl_b64 s[8:9], s[8:9], 1
	s_add_u32 s8, s12, s8
	s_movk_i32 s3, 0x100
	s_addc_u32 s9, s13, s9
	s_waitcnt lgkmcnt(0)
	v_or_b32_sdwa v8, v25, s3 dst_sel:DWORD dst_unused:UNUSED_PAD src0_sel:BYTE_0 src1_sel:DWORD
	global_store_short v11, v8, s[8:9] sc1
.LBB16_62:
	s_or_b64 exec, exec, s[6:7]
	v_xad_u32 v8, v9, -1, s2
	v_add_u32_e32 v10, 64, v8
	v_lshl_add_u64 v[10:11], v[10:11], 1, s[12:13]
	global_load_ushort v12, v[10:11], off sc1
	s_waitcnt vmcnt(0)
	v_lshrrev_b16_e32 v26, 8, v12
	v_cmp_eq_u16_e32 vcc, 0, v26
	s_and_saveexec_b64 s[6:7], vcc
	s_cbranch_execz .LBB16_66
; %bb.63:
	s_mov_b64 s[8:9], 0
	v_mov_b32_e32 v13, 0
.LBB16_64:                              ; =>This Inner Loop Header: Depth=1
	global_load_ushort v12, v[10:11], off sc1
	s_waitcnt vmcnt(0)
	v_cmp_ne_u16_sdwa s[10:11], v12, v13 src0_sel:BYTE_1 src1_sel:DWORD
	s_or_b64 s[8:9], s[10:11], s[8:9]
	v_lshrrev_b16_e32 v26, 8, v12
	s_andn2_b64 exec, exec, s[8:9]
	s_cbranch_execnz .LBB16_64
; %bb.65:
	s_or_b64 exec, exec, s[8:9]
.LBB16_66:
	s_or_b64 exec, exec, s[6:7]
	v_cmp_eq_u16_e32 vcc, 2, v26
	v_lshlrev_b64 v[10:11], v9, -1
	v_and_b32_e32 v37, 63, v9
	v_and_b32_e32 v13, vcc_hi, v11
	v_and_b32_e32 v28, vcc_lo, v10
	v_cmp_ne_u32_e32 vcc, 63, v37
	v_and_b32_e32 v29, 0xff, v12
	v_or_b32_e32 v13, 0x80000000, v13
	v_addc_co_u32_e32 v27, vcc, 0, v9, vcc
	v_lshlrev_b32_e32 v27, 2, v27
	ds_bpermute_b32 v30, v27, v29
	v_ffbl_b32_e32 v13, v13
	v_add_u32_e32 v13, 32, v13
	v_ffbl_b32_e32 v28, v28
	v_min_u32_e32 v13, v28, v13
	v_add_u32_e32 v28, 1, v9
	s_waitcnt lgkmcnt(0)
	v_add_u16_e32 v30, v12, v30
	v_and_b32_e32 v31, 0xff, v30
	v_cmp_le_u32_e32 vcc, v28, v13
	v_cmp_gt_u32_e64 s[6:7], 62, v37
	v_cmp_gt_u32_e64 s[8:9], 60, v37
	v_cndmask_b32_e32 v31, v29, v31, vcc
	v_cndmask_b32_e64 v29, 0, 1, s[6:7]
	v_lshlrev_b32_e32 v29, 1, v29
	v_add_lshl_u32 v29, v29, v9, 2
	ds_bpermute_b32 v32, v29, v31
	v_cndmask_b32_e32 v33, v12, v30, vcc
	v_add_u32_e32 v30, 2, v9
	v_cmp_le_u32_e64 s[6:7], v30, v13
	v_cmp_gt_u32_e64 s[10:11], 56, v37
	s_waitcnt lgkmcnt(0)
	v_add_u16_e32 v32, v33, v32
	v_and_b32_e32 v34, 0xff, v32
	v_cndmask_b32_e64 v34, v31, v34, s[6:7]
	v_cndmask_b32_e64 v31, 0, 1, s[8:9]
	v_lshlrev_b32_e32 v31, 2, v31
	v_add_lshl_u32 v31, v31, v9, 2
	ds_bpermute_b32 v35, v31, v34
	v_cndmask_b32_e64 v36, v33, v32, s[6:7]
	v_add_u32_e32 v32, 4, v9
	v_cmp_le_u32_e64 s[8:9], v32, v13
	s_waitcnt lgkmcnt(0)
	v_add_u16_e32 v35, v36, v35
	v_and_b32_e32 v33, 0xff, v35
	v_cndmask_b32_e64 v38, v34, v33, s[8:9]
	v_cndmask_b32_e64 v33, 0, 1, s[10:11]
	v_lshlrev_b32_e32 v33, 3, v33
	v_add_lshl_u32 v33, v33, v9, 2
	ds_bpermute_b32 v39, v33, v38
	v_cndmask_b32_e64 v36, v36, v35, s[8:9]
	v_add_u32_e32 v34, 8, v9
	s_or_b64 s[10:11], vcc, s[6:7]
	v_cmp_le_u32_e32 vcc, v34, v13
	s_waitcnt lgkmcnt(0)
	v_add_u16_e32 v39, v36, v39
	v_and_b32_e32 v35, 0xff, v39
	v_cmp_gt_u32_e64 s[6:7], 48, v37
	v_cndmask_b32_e32 v38, v38, v35, vcc
	v_cndmask_b32_e32 v41, v36, v39, vcc
	v_cndmask_b32_e64 v35, 0, 1, s[6:7]
	v_lshlrev_b32_e32 v35, 4, v35
	v_add_lshl_u32 v35, v35, v9, 2
	ds_bpermute_b32 v40, v35, v38
	s_or_b64 s[6:7], s[8:9], s[10:11]
	s_or_b64 s[8:9], vcc, s[6:7]
	v_cmp_gt_u32_e64 s[6:7], 32, v37
	v_add_u32_e32 v36, 16, v9
	s_waitcnt lgkmcnt(0)
	v_add_u16_e32 v40, v41, v40
	v_cndmask_b32_e64 v37, 0, 1, s[6:7]
	v_and_b32_e32 v39, 0xff, v40
	v_cmp_le_u32_e32 vcc, v36, v13
	v_lshlrev_b32_e32 v37, 5, v37
	s_or_b64 s[6:7], vcc, s[8:9]
	v_cndmask_b32_e32 v39, v38, v39, vcc
	v_add_lshl_u32 v38, v37, v9, 2
	ds_bpermute_b32 v37, v38, v39
	v_add_u32_e32 v39, 32, v9
	v_cndmask_b32_e32 v9, v41, v40, vcc
	v_cmp_le_u32_e32 vcc, v39, v13
	v_mov_b32_e32 v40, 2
	s_waitcnt lgkmcnt(0)
	v_cndmask_b32_e32 v13, 0, v37, vcc
	v_add_u16_e32 v9, v9, v13
	s_or_b64 vcc, vcc, s[6:7]
	v_cndmask_b32_e32 v12, v12, v9, vcc
	v_mov_b32_e32 v9, 0
	s_branch .LBB16_68
.LBB16_67:                              ;   in Loop: Header=BB16_68 Depth=1
	s_or_b64 exec, exec, s[6:7]
	v_and_b32_e32 v42, 0xff, v41
	v_cmp_eq_u16_e32 vcc, 2, v26
	ds_bpermute_b32 v43, v27, v42
	v_subrev_u32_e32 v8, 64, v8
	v_and_b32_e32 v12, vcc_hi, v11
	v_or_b32_e32 v12, 0x80000000, v12
	v_and_b32_e32 v13, vcc_lo, v10
	v_ffbl_b32_e32 v12, v12
	v_add_u32_e32 v12, 32, v12
	v_ffbl_b32_e32 v13, v13
	v_min_u32_e32 v12, v13, v12
	s_waitcnt lgkmcnt(0)
	v_add_u16_e32 v13, v41, v43
	v_and_b32_e32 v43, 0xff, v13
	v_cmp_le_u32_e32 vcc, v28, v12
	v_cmp_le_u32_e64 s[6:7], v30, v12
	v_cmp_le_u32_e64 s[8:9], v32, v12
	v_cndmask_b32_e32 v42, v42, v43, vcc
	ds_bpermute_b32 v43, v29, v42
	v_cndmask_b32_e32 v13, v41, v13, vcc
	v_cmp_le_u32_e64 s[10:11], v34, v12
	s_waitcnt lgkmcnt(0)
	v_add_u16_e32 v43, v13, v43
	v_and_b32_e32 v44, 0xff, v43
	v_cndmask_b32_e64 v42, v42, v44, s[6:7]
	ds_bpermute_b32 v44, v31, v42
	v_cndmask_b32_e64 v13, v13, v43, s[6:7]
	s_or_b64 s[6:7], vcc, s[6:7]
	v_cmp_le_u32_e32 vcc, v36, v12
	s_or_b64 s[6:7], s[8:9], s[6:7]
	s_waitcnt lgkmcnt(0)
	v_add_u16_e32 v43, v13, v44
	v_and_b32_e32 v44, 0xff, v43
	v_cndmask_b32_e64 v42, v42, v44, s[8:9]
	ds_bpermute_b32 v44, v33, v42
	v_cndmask_b32_e64 v13, v13, v43, s[8:9]
	s_or_b64 s[6:7], s[10:11], s[6:7]
	s_or_b64 s[6:7], vcc, s[6:7]
	s_waitcnt lgkmcnt(0)
	v_add_u16_e32 v43, v13, v44
	v_and_b32_e32 v44, 0xff, v43
	v_cndmask_b32_e64 v42, v42, v44, s[10:11]
	ds_bpermute_b32 v44, v35, v42
	v_cndmask_b32_e64 v13, v13, v43, s[10:11]
	s_waitcnt lgkmcnt(0)
	v_add_u16_e32 v43, v13, v44
	v_and_b32_e32 v44, 0xff, v43
	v_cndmask_b32_e32 v42, v42, v44, vcc
	ds_bpermute_b32 v42, v38, v42
	v_cndmask_b32_e32 v13, v13, v43, vcc
	v_cmp_le_u32_e32 vcc, v39, v12
	s_waitcnt lgkmcnt(0)
	s_nop 0
	v_cndmask_b32_e32 v12, 0, v42, vcc
	v_add_u16_e32 v12, v13, v12
	s_or_b64 vcc, vcc, s[6:7]
	v_cndmask_b32_e32 v12, v41, v12, vcc
	v_add_u16_e32 v12, v12, v37
.LBB16_68:                              ; =>This Loop Header: Depth=1
                                        ;     Child Loop BB16_71 Depth 2
	v_cmp_ne_u16_sdwa s[6:7], v26, v40 src0_sel:BYTE_0 src1_sel:DWORD
	v_mov_b32_e32 v37, v12
	s_nop 0
	v_cndmask_b32_e64 v13, 0, 1, s[6:7]
	;;#ASMSTART
	;;#ASMEND
	s_nop 0
	v_cmp_ne_u32_e32 vcc, 0, v13
	s_cmp_lg_u64 vcc, exec
	s_cbranch_scc1 .LBB16_73
; %bb.69:                               ;   in Loop: Header=BB16_68 Depth=1
	v_lshl_add_u64 v[12:13], v[8:9], 1, s[12:13]
	global_load_ushort v41, v[12:13], off sc1
	s_waitcnt vmcnt(0)
	v_lshrrev_b16_e32 v26, 8, v41
	v_cmp_eq_u16_e32 vcc, 0, v26
	s_and_saveexec_b64 s[6:7], vcc
	s_cbranch_execz .LBB16_67
; %bb.70:                               ;   in Loop: Header=BB16_68 Depth=1
	s_mov_b64 s[8:9], 0
.LBB16_71:                              ;   Parent Loop BB16_68 Depth=1
                                        ; =>  This Inner Loop Header: Depth=2
	global_load_ushort v41, v[12:13], off sc1
	s_waitcnt vmcnt(0)
	v_lshrrev_b16_e32 v26, 8, v41
	v_cmp_ne_u16_e32 vcc, 0, v26
	s_or_b64 s[8:9], vcc, s[8:9]
	s_andn2_b64 exec, exec, s[8:9]
	s_cbranch_execnz .LBB16_71
; %bb.72:                               ;   in Loop: Header=BB16_68 Depth=1
	s_or_b64 exec, exec, s[8:9]
	s_branch .LBB16_67
.LBB16_73:                              ;   in Loop: Header=BB16_68 Depth=1
                                        ; implicit-def: $vgpr12
                                        ; implicit-def: $vgpr26
	s_cbranch_execz .LBB16_68
; %bb.74:
	s_and_saveexec_b64 s[6:7], s[4:5]
	s_cbranch_execz .LBB16_76
; %bb.75:
	s_add_i32 s2, s2, 64
	s_mov_b32 s3, 0
	s_lshl_b64 s[2:3], s[2:3], 1
	s_add_u32 s2, s12, s2
	v_add_u16_e32 v9, v37, v25
	s_movk_i32 s8, 0x200
	s_addc_u32 s3, s13, s3
	v_mov_b32_e32 v8, 0
	v_or_b32_sdwa v9, v9, s8 dst_sel:DWORD dst_unused:UNUSED_PAD src0_sel:BYTE_0 src1_sel:DWORD
	global_store_short v8, v9, s[2:3] sc1
.LBB16_76:
	s_or_b64 exec, exec, s[6:7]
	v_cmp_eq_u32_e32 vcc, 0, v0
	s_and_b64 exec, exec, vcc
	s_cbranch_execz .LBB16_78
; %bb.77:
	v_mov_b32_e32 v8, 0
	ds_write_b8 v8, v37 offset:3
.LBB16_78:
	s_or_b64 exec, exec, s[18:19]
	v_mov_b32_e32 v8, 0
	s_waitcnt lgkmcnt(0)
	s_barrier
	ds_read_u8 v8, v8 offset:3
	v_cndmask_b32_e64 v9, v24, v23, s[4:5]
	v_cmp_ne_u32_e32 vcc, 0, v0
	s_nop 1
	v_cndmask_b32_e32 v9, 0, v9, vcc
	v_add_u16_e32 v9, v9, v2
	s_waitcnt lgkmcnt(0)
	v_add_u16_e32 v8, v9, v8
	s_load_dwordx4 s[4:7], s[0:1], 0x30
	s_branch .LBB16_91
.LBB16_79:
                                        ; implicit-def: $vgpr8
	s_load_dwordx4 s[4:7], s[0:1], 0x30
	s_cbranch_execz .LBB16_91
; %bb.80:
	s_load_dword s2, s[0:1], 0x40
	v_cmp_eq_u32_e32 vcc, 0, v0
	v_mov_b32_e32 v8, v2
	s_waitcnt lgkmcnt(0)
	s_bitcmp1_b32 s2, 0
	s_cselect_b64 s[2:3], -1, 0
	s_and_b64 s[8:9], vcc, s[2:3]
	s_and_saveexec_b64 s[2:3], s[8:9]
	s_cbranch_execz .LBB16_82
; %bb.81:
	v_mov_b32_e32 v8, 0
	global_load_ubyte v8, v8, s[4:5]
	s_waitcnt vmcnt(0)
	v_add_u16_e32 v8, v8, v2
.LBB16_82:
	s_or_b64 exec, exec, s[2:3]
	v_add_u16_sdwa v9, v2, v19 dst_sel:DWORD dst_unused:UNUSED_PAD src0_sel:WORD_1 src1_sel:DWORD
	v_add_u16_sdwa v9, v9, v2 dst_sel:DWORD dst_unused:UNUSED_PAD src0_sel:DWORD src1_sel:BYTE_3
	v_add_u16_e32 v9, v9, v3
	v_add_u16_e32 v9, v9, v18
	v_add_u16_sdwa v9, v9, v3 dst_sel:DWORD dst_unused:UNUSED_PAD src0_sel:DWORD src1_sel:WORD_1
	v_add_u16_sdwa v9, v9, v3 dst_sel:DWORD dst_unused:UNUSED_PAD src0_sel:DWORD src1_sel:BYTE_3
	v_add_u16_e32 v9, v9, v4
	v_add_u16_e32 v9, v9, v17
	v_add_u16_sdwa v9, v9, v4 dst_sel:DWORD dst_unused:UNUSED_PAD src0_sel:DWORD src1_sel:WORD_1
	;; [unrolled: 4-line block ×5, first 2 shown]
	v_add_u16_sdwa v9, v9, v7 dst_sel:DWORD dst_unused:UNUSED_PAD src0_sel:DWORD src1_sel:BYTE_3
	v_add_u16_e32 v10, v9, v8
	v_mbcnt_hi_u32_b32 v9, -1, v22
	v_and_b32_e32 v11, 15, v9
	v_and_b32_e32 v12, 0xff, v10
	v_cmp_ne_u32_e64 s[2:3], 0, v11
	s_nop 0
	v_mov_b32_dpp v12, v12 row_shr:1 row_mask:0xf bank_mask:0xf
	v_cndmask_b32_e64 v12, 0, v12, s[2:3]
	v_add_u16_e32 v10, v10, v12
	v_and_b32_e32 v12, 0xff, v10
	v_cmp_lt_u32_e64 s[2:3], 1, v11
	s_nop 0
	v_mov_b32_dpp v12, v12 row_shr:2 row_mask:0xf bank_mask:0xf
	v_cndmask_b32_e64 v12, 0, v12, s[2:3]
	v_add_u16_e32 v10, v10, v12
	v_and_b32_e32 v12, 0xff, v10
	v_cmp_lt_u32_e64 s[2:3], 3, v11
	;; [unrolled: 6-line block ×3, first 2 shown]
	s_nop 0
	v_mov_b32_dpp v12, v12 row_shr:8 row_mask:0xf bank_mask:0xf
	v_cndmask_b32_e64 v11, 0, v12, s[2:3]
	v_add_u16_e32 v10, v10, v11
	v_and_b32_e32 v11, 0xff, v10
	v_and_b32_e32 v12, 16, v9
	v_cmp_ne_u32_e64 s[2:3], 0, v12
	v_mov_b32_dpp v11, v11 row_bcast:15 row_mask:0xf bank_mask:0xf
	s_nop 0
	v_cndmask_b32_e64 v11, 0, v11, s[2:3]
	v_add_u16_e32 v10, v10, v11
	v_and_b32_e32 v11, 0xff, v10
	v_cmp_lt_u32_e64 s[2:3], 31, v9
	s_nop 0
	v_mov_b32_dpp v11, v11 row_bcast:31 row_mask:0xf bank_mask:0xf
	v_cndmask_b32_e64 v11, 0, v11, s[2:3]
	v_add_u16_e32 v10, v10, v11
	v_cmp_eq_u32_e64 s[2:3], v21, v0
	s_and_saveexec_b64 s[4:5], s[2:3]
	s_cbranch_execz .LBB16_84
; %bb.83:
	ds_write_b8 v20, v10
.LBB16_84:
	s_or_b64 exec, exec, s[4:5]
	v_cmp_gt_u32_e64 s[2:3], 4, v0
	s_waitcnt lgkmcnt(0)
	s_barrier
	s_and_saveexec_b64 s[4:5], s[2:3]
	s_cbranch_execz .LBB16_86
; %bb.85:
	ds_read_u8 v11, v0
	v_and_b32_e32 v12, 3, v9
	v_cmp_ne_u32_e64 s[2:3], 0, v12
	s_waitcnt lgkmcnt(0)
	v_and_b32_e32 v13, 0xff, v11
	s_nop 1
	v_mov_b32_dpp v13, v13 row_shr:1 row_mask:0xf bank_mask:0xf
	v_cndmask_b32_e64 v13, 0, v13, s[2:3]
	v_add_u16_e32 v11, v13, v11
	v_and_b32_e32 v13, 0xff, v11
	v_cmp_lt_u32_e64 s[2:3], 1, v12
	s_nop 0
	v_mov_b32_dpp v13, v13 row_shr:2 row_mask:0xf bank_mask:0xf
	v_cndmask_b32_e64 v12, 0, v13, s[2:3]
	v_add_u16_e32 v11, v11, v12
	ds_write_b8 v0, v11
.LBB16_86:
	s_or_b64 exec, exec, s[4:5]
	v_cmp_lt_u32_e64 s[2:3], 63, v0
	s_waitcnt lgkmcnt(0)
	s_barrier
	s_waitcnt lgkmcnt(0)
                                        ; implicit-def: $vgpr11
	s_and_saveexec_b64 s[4:5], s[2:3]
	s_cbranch_execz .LBB16_88
; %bb.87:
	v_add_u32_e32 v11, -1, v20
	ds_read_u8 v11, v11
	s_waitcnt lgkmcnt(0)
	v_add_u16_e32 v10, v11, v10
.LBB16_88:
	s_or_b64 exec, exec, s[4:5]
	v_add_u32_e32 v12, -1, v9
	v_and_b32_e32 v13, 64, v9
	v_cmp_lt_i32_e64 s[2:3], v12, v13
	v_and_b32_e32 v10, 0xff, v10
	s_nop 0
	v_cndmask_b32_e64 v12, v12, v9, s[2:3]
	v_lshlrev_b32_e32 v12, 2, v12
	ds_bpermute_b32 v10, v12, v10
	v_cmp_eq_u32_e64 s[2:3], 0, v9
	s_waitcnt lgkmcnt(0)
	s_nop 0
	v_cndmask_b32_e64 v9, v10, v11, s[2:3]
	v_cndmask_b32_e64 v9, v9, 0, vcc
	s_and_saveexec_b64 s[2:3], vcc
	s_cbranch_execz .LBB16_90
; %bb.89:
	v_mov_b32_e32 v10, 0
	ds_read_u8 v11, v10 offset:3
	s_waitcnt lgkmcnt(0)
	v_or_b32_e32 v11, 0x200, v11
	global_store_short v10, v11, s[12:13] offset:128 sc1
.LBB16_90:
	s_or_b64 exec, exec, s[2:3]
	v_add_u16_e32 v8, v9, v8
.LBB16_91:
	v_add_u16_e32 v19, v8, v19
	v_add_u16_sdwa v9, v19, v2 dst_sel:DWORD dst_unused:UNUSED_PAD src0_sel:DWORD src1_sel:WORD_1
	v_add_u16_sdwa v20, v9, v2 dst_sel:DWORD dst_unused:UNUSED_PAD src0_sel:DWORD src1_sel:BYTE_3
	v_add_u16_e32 v10, v20, v3
	v_add_u16_e32 v18, v10, v18
	v_add_u16_sdwa v11, v18, v3 dst_sel:DWORD dst_unused:UNUSED_PAD src0_sel:DWORD src1_sel:WORD_1
	v_add_u16_sdwa v22, v11, v3 dst_sel:DWORD dst_unused:UNUSED_PAD src0_sel:DWORD src1_sel:BYTE_3
	v_add_u16_e32 v12, v22, v4
	v_add_u16_e32 v21, v12, v17
	v_add_u16_sdwa v13, v21, v4 dst_sel:DWORD dst_unused:UNUSED_PAD src0_sel:DWORD src1_sel:WORD_1
	v_add_u16_sdwa v24, v13, v4 dst_sel:DWORD dst_unused:UNUSED_PAD src0_sel:DWORD src1_sel:BYTE_3
	v_add_u16_e32 v17, v24, v5
	v_add_u16_e32 v23, v17, v16
	v_add_u16_sdwa v16, v23, v5 dst_sel:DWORD dst_unused:UNUSED_PAD src0_sel:DWORD src1_sel:WORD_1
	v_add_u16_sdwa v26, v16, v5 dst_sel:DWORD dst_unused:UNUSED_PAD src0_sel:DWORD src1_sel:BYTE_3
	v_add_u16_e32 v2, v26, v6
	v_add_u16_e32 v27, v2, v15
	v_add_u16_sdwa v3, v27, v6 dst_sel:DWORD dst_unused:UNUSED_PAD src0_sel:DWORD src1_sel:WORD_1
	v_add_u16_sdwa v28, v3, v6 dst_sel:DWORD dst_unused:UNUSED_PAD src0_sel:DWORD src1_sel:BYTE_3
	v_add_u16_e32 v4, v28, v7
	v_add_u16_e32 v1, v4, v1
	v_add_u16_sdwa v5, v1, v7 dst_sel:DWORD dst_unused:UNUSED_PAD src0_sel:DWORD src1_sel:WORD_1
	v_add_u16_sdwa v6, v5, v7 dst_sel:DWORD dst_unused:UNUSED_PAD src0_sel:DWORD src1_sel:BYTE_3
	s_add_u32 s2, s14, s22
	s_addc_u32 s3, s15, 0
	s_waitcnt lgkmcnt(0)
	s_mov_b64 s[4:5], -1
	s_and_b64 vcc, exec, s[16:17]
	v_lshlrev_b16_e32 v25, 8, v23
	v_lshlrev_b16_e32 v26, 8, v26
	;; [unrolled: 1-line block ×12, first 2 shown]
	s_barrier
	s_cbranch_vccz .LBB16_93
; %bb.92:
	v_or_b32_sdwa v1, v17, v25 dst_sel:DWORD dst_unused:UNUSED_PAD src0_sel:BYTE_0 src1_sel:DWORD
	v_or_b32_sdwa v27, v16, v26 dst_sel:WORD_1 dst_unused:UNUSED_PAD src0_sel:BYTE_0 src1_sel:DWORD
	s_mov_b64 s[4:5], 0
	v_or_b32_sdwa v29, v1, v27 dst_sel:DWORD dst_unused:UNUSED_PAD src0_sel:WORD_0 src1_sel:DWORD
	v_or_b32_sdwa v1, v12, v23 dst_sel:DWORD dst_unused:UNUSED_PAD src0_sel:BYTE_0 src1_sel:DWORD
	v_or_b32_sdwa v27, v13, v24 dst_sel:WORD_1 dst_unused:UNUSED_PAD src0_sel:BYTE_0 src1_sel:DWORD
	s_nop 0
	v_or_b32_sdwa v28, v1, v27 dst_sel:DWORD dst_unused:UNUSED_PAD src0_sel:WORD_0 src1_sel:DWORD
	v_or_b32_sdwa v1, v10, v21 dst_sel:DWORD dst_unused:UNUSED_PAD src0_sel:BYTE_0 src1_sel:DWORD
	v_or_b32_sdwa v27, v11, v22 dst_sel:WORD_1 dst_unused:UNUSED_PAD src0_sel:BYTE_0 src1_sel:DWORD
	s_nop 0
	;; [unrolled: 4-line block ×3, first 2 shown]
	v_or_b32_sdwa v30, v1, v27 dst_sel:DWORD dst_unused:UNUSED_PAD src0_sel:WORD_0 src1_sel:DWORD
	v_or_b32_sdwa v1, v4, v15 dst_sel:DWORD dst_unused:UNUSED_PAD src0_sel:BYTE_0 src1_sel:DWORD
	v_or_b32_sdwa v27, v5, v18 dst_sel:WORD_1 dst_unused:UNUSED_PAD src0_sel:BYTE_0 src1_sel:DWORD
	ds_write2_b64 v14, v[30:31], v[28:29] offset1:1
	v_or_b32_sdwa v29, v1, v27 dst_sel:DWORD dst_unused:UNUSED_PAD src0_sel:WORD_0 src1_sel:DWORD
	v_or_b32_sdwa v1, v2, v6 dst_sel:DWORD dst_unused:UNUSED_PAD src0_sel:BYTE_0 src1_sel:DWORD
	v_or_b32_sdwa v27, v3, v7 dst_sel:WORD_1 dst_unused:UNUSED_PAD src0_sel:BYTE_0 src1_sel:DWORD
	s_nop 0
	v_or_b32_sdwa v28, v1, v27 dst_sel:DWORD dst_unused:UNUSED_PAD src0_sel:WORD_0 src1_sel:DWORD
	ds_write_b64 v14, v[28:29] offset:16
	s_waitcnt lgkmcnt(0)
	s_barrier
	ds_read_u8 v27, v0
	ds_read_u8 v30, v0 offset:256
	ds_read_u8 v31, v0 offset:512
	;; [unrolled: 1-line block ×23, first 2 shown]
	v_mov_b32_e32 v1, 0
	v_lshl_add_u64 v[28:29], s[2:3], 0, v[0:1]
	v_add_co_u32_e32 v28, vcc, 0x1000, v28
	s_waitcnt lgkmcnt(14)
	global_store_byte v0, v27, s[2:3]
	global_store_byte v0, v30, s[2:3] offset:256
	global_store_byte v0, v31, s[2:3] offset:512
	;; [unrolled: 1-line block ×9, first 2 shown]
	s_waitcnt lgkmcnt(13)
	global_store_byte v0, v39, s[2:3] offset:2560
	s_waitcnt lgkmcnt(12)
	global_store_byte v0, v40, s[2:3] offset:2816
	;; [unrolled: 2-line block ×6, first 2 shown]
	v_addc_co_u32_e32 v29, vcc, 0, v29, vcc
	s_waitcnt lgkmcnt(7)
	global_store_byte v[28:29], v45, off
	s_waitcnt lgkmcnt(6)
	global_store_byte v[28:29], v46, off offset:256
	s_waitcnt lgkmcnt(5)
	global_store_byte v[28:29], v47, off offset:512
	;; [unrolled: 2-line block ×7, first 2 shown]
.LBB16_93:
	s_andn2_b64 vcc, exec, s[4:5]
	s_cbranch_vccnz .LBB16_150
; %bb.94:
	v_or_b32_sdwa v1, v17, v25 dst_sel:DWORD dst_unused:UNUSED_PAD src0_sel:BYTE_0 src1_sel:DWORD
	v_or_b32_sdwa v16, v16, v26 dst_sel:WORD_1 dst_unused:UNUSED_PAD src0_sel:BYTE_0 src1_sel:DWORD
	v_cmp_gt_u32_e32 vcc, s20, v0
	v_or_b32_sdwa v17, v1, v16 dst_sel:DWORD dst_unused:UNUSED_PAD src0_sel:WORD_0 src1_sel:DWORD
	v_or_b32_sdwa v1, v12, v23 dst_sel:DWORD dst_unused:UNUSED_PAD src0_sel:BYTE_0 src1_sel:DWORD
	v_or_b32_sdwa v12, v13, v24 dst_sel:WORD_1 dst_unused:UNUSED_PAD src0_sel:BYTE_0 src1_sel:DWORD
	s_nop 0
	v_or_b32_sdwa v16, v1, v12 dst_sel:DWORD dst_unused:UNUSED_PAD src0_sel:WORD_0 src1_sel:DWORD
	v_or_b32_sdwa v1, v10, v21 dst_sel:DWORD dst_unused:UNUSED_PAD src0_sel:BYTE_0 src1_sel:DWORD
	v_or_b32_sdwa v10, v11, v22 dst_sel:WORD_1 dst_unused:UNUSED_PAD src0_sel:BYTE_0 src1_sel:DWORD
	s_nop 0
	;; [unrolled: 4-line block ×3, first 2 shown]
	v_or_b32_sdwa v10, v1, v8 dst_sel:DWORD dst_unused:UNUSED_PAD src0_sel:WORD_0 src1_sel:DWORD
	v_or_b32_sdwa v1, v4, v15 dst_sel:DWORD dst_unused:UNUSED_PAD src0_sel:BYTE_0 src1_sel:DWORD
	v_or_b32_sdwa v4, v5, v18 dst_sel:WORD_1 dst_unused:UNUSED_PAD src0_sel:BYTE_0 src1_sel:DWORD
	ds_write2_b64 v14, v[10:11], v[16:17] offset1:1
	v_or_b32_sdwa v5, v1, v4 dst_sel:DWORD dst_unused:UNUSED_PAD src0_sel:WORD_0 src1_sel:DWORD
	v_or_b32_sdwa v1, v2, v6 dst_sel:DWORD dst_unused:UNUSED_PAD src0_sel:BYTE_0 src1_sel:DWORD
	v_or_b32_sdwa v2, v3, v7 dst_sel:WORD_1 dst_unused:UNUSED_PAD src0_sel:BYTE_0 src1_sel:DWORD
	s_nop 0
	v_or_b32_sdwa v4, v1, v2 dst_sel:DWORD dst_unused:UNUSED_PAD src0_sel:WORD_0 src1_sel:DWORD
	ds_write_b64 v14, v[4:5] offset:16
	s_waitcnt lgkmcnt(0)
	s_barrier
	ds_read_u8 v5, v0
	ds_read_u8 v4, v0 offset:256
	ds_read_u8 v7, v0 offset:512
	;; [unrolled: 1-line block ×23, first 2 shown]
	v_mov_b32_e32 v1, 0
	v_lshl_add_u64 v[2:3], s[2:3], 0, v[0:1]
	s_and_saveexec_b64 s[2:3], vcc
	s_cbranch_execz .LBB16_96
; %bb.95:
	s_waitcnt lgkmcnt(14)
	global_store_byte v[2:3], v5, off
.LBB16_96:
	s_or_b64 exec, exec, s[2:3]
	v_or_b32_e32 v29, 0x100, v0
	v_cmp_gt_u32_e32 vcc, s20, v29
	s_and_saveexec_b64 s[2:3], vcc
	s_cbranch_execz .LBB16_98
; %bb.97:
	s_waitcnt lgkmcnt(14)
	global_store_byte v[2:3], v4, off offset:256
.LBB16_98:
	s_or_b64 exec, exec, s[2:3]
	v_or_b32_e32 v29, 0x200, v0
	v_cmp_gt_u32_e32 vcc, s20, v29
	s_and_saveexec_b64 s[2:3], vcc
	s_cbranch_execz .LBB16_100
; %bb.99:
	s_waitcnt lgkmcnt(14)
	global_store_byte v[2:3], v7, off offset:512
.LBB16_100:
	;; [unrolled: 9-line block ×15, first 2 shown]
	s_or_b64 exec, exec, s[2:3]
	v_or_b32_e32 v29, 0x1000, v0
	v_cmp_gt_u32_e32 vcc, s20, v29
	s_and_saveexec_b64 s[2:3], vcc
	s_cbranch_execz .LBB16_128
; %bb.127:
	v_add_co_u32_e32 v30, vcc, 0x1000, v2
	s_nop 1
	v_addc_co_u32_e32 v31, vcc, 0, v3, vcc
	s_waitcnt lgkmcnt(7)
	global_store_byte v[30:31], v23, off
.LBB16_128:
	s_or_b64 exec, exec, s[2:3]
	v_or_b32_e32 v29, 0x1100, v0
	v_cmp_gt_u32_e32 vcc, s20, v29
	s_and_saveexec_b64 s[2:3], vcc
	s_cbranch_execz .LBB16_130
; %bb.129:
	v_add_co_u32_e32 v30, vcc, 0x1000, v2
	s_nop 1
	v_addc_co_u32_e32 v31, vcc, 0, v3, vcc
	s_waitcnt lgkmcnt(6)
	global_store_byte v[30:31], v26, off offset:256
.LBB16_130:
	s_or_b64 exec, exec, s[2:3]
	v_or_b32_e32 v29, 0x1200, v0
	v_cmp_gt_u32_e32 vcc, s20, v29
	s_and_saveexec_b64 s[2:3], vcc
	s_cbranch_execz .LBB16_132
; %bb.131:
	v_add_co_u32_e32 v30, vcc, 0x1000, v2
	s_nop 1
	v_addc_co_u32_e32 v31, vcc, 0, v3, vcc
	s_waitcnt lgkmcnt(5)
	global_store_byte v[30:31], v25, off offset:512
.LBB16_132:
	;; [unrolled: 12-line block ×7, first 2 shown]
	s_or_b64 exec, exec, s[2:3]
	s_load_dword s0, s[0:1], 0x40
	s_waitcnt lgkmcnt(0)
	s_bfe_u32 s0, s0, 0x10008
	s_cmp_eq_u32 s0, 0
	s_cbranch_scc1 .LBB16_150
; %bb.143:
	s_add_u32 s0, s20, -1
	s_addc_u32 s1, s21, -1
	s_add_u32 s2, 0, 0xaaaa0000
	s_addc_u32 s3, 0, 42
	s_add_i32 s3, s3, 0xaaaaa80
	s_mul_hi_u32 s9, s2, 0xffffffe8
	s_sub_i32 s9, s9, s2
	s_mul_i32 s10, s3, 0xffffffe8
	s_mul_i32 s4, s2, 0xffffffe8
	s_add_i32 s9, s9, s10
	s_mul_hi_u32 s5, s3, s4
	s_mul_i32 s8, s3, s4
	s_mul_i32 s11, s2, s9
	s_mul_hi_u32 s4, s2, s4
	s_mul_hi_u32 s10, s2, s9
	s_add_u32 s4, s4, s11
	s_addc_u32 s10, 0, s10
	s_add_u32 s4, s4, s8
	s_mul_hi_u32 s11, s3, s9
	s_addc_u32 s4, s10, s5
	s_addc_u32 s5, s11, 0
	s_mul_i32 s8, s3, s9
	s_add_u32 s4, s4, s8
	v_mov_b32_e32 v2, s4
	s_addc_u32 s5, 0, s5
	v_add_co_u32_e32 v2, vcc, s2, v2
	s_cmp_lg_u64 vcc, 0
	s_addc_u32 s2, s3, s5
	v_readfirstlane_b32 s5, v2
	s_mul_i32 s4, s0, s2
	s_mul_hi_u32 s8, s0, s5
	s_mul_hi_u32 s3, s0, s2
	s_add_u32 s4, s8, s4
	s_addc_u32 s3, 0, s3
	s_mul_hi_u32 s9, s1, s5
	s_mul_i32 s5, s1, s5
	s_add_u32 s4, s4, s5
	s_mul_hi_u32 s8, s1, s2
	s_addc_u32 s3, s3, s9
	s_addc_u32 s4, s8, 0
	s_mul_i32 s2, s1, s2
	s_add_u32 s2, s3, s2
	s_addc_u32 s3, 0, s4
	s_add_u32 s4, s2, 1
	s_addc_u32 s5, s3, 0
	s_add_u32 s8, s2, 2
	s_mul_i32 s10, s3, 24
	s_mul_hi_u32 s11, s2, 24
	s_addc_u32 s9, s3, 0
	s_add_i32 s11, s11, s10
	s_mul_i32 s10, s2, 24
	v_mov_b32_e32 v2, s10
	v_sub_co_u32_e32 v2, vcc, s0, v2
	s_cmp_lg_u64 vcc, 0
	s_subb_u32 s10, s1, s11
	v_subrev_co_u32_e32 v3, vcc, 24, v2
	s_cmp_lg_u64 vcc, 0
	s_subb_u32 s11, s10, 0
	v_readfirstlane_b32 s12, v3
	s_cmp_gt_u32 s12, 23
	s_cselect_b32 s12, -1, 0
	s_cmp_eq_u32 s11, 0
	s_cselect_b32 s11, s12, -1
	s_cmp_lg_u32 s11, 0
	s_cselect_b32 s4, s8, s4
	v_readfirstlane_b32 s8, v2
	s_cselect_b32 s5, s9, s5
	s_cmp_gt_u32 s8, 23
	s_cselect_b32 s8, -1, 0
	s_cmp_eq_u32 s10, 0
	s_cselect_b32 s8, s8, -1
	s_cmp_lg_u32 s8, 0
	s_cselect_b32 s3, s5, s3
	s_cselect_b32 s2, s4, s2
	v_cmp_eq_u64_e32 vcc, s[2:3], v[0:1]
	s_and_saveexec_b64 s[2:3], vcc
	s_cbranch_execz .LBB16_150
; %bb.144:
	v_mul_hi_u32_u24_e32 v1, 24, v0
	v_mov_b32_e32 v2, s1
	v_sub_co_u32_e32 v0, vcc, s0, v14
	s_mov_b64 s[0:1], 0
	s_nop 0
	v_subb_co_u32_e32 v1, vcc, v2, v1, vcc
	v_cmp_lt_i64_e32 vcc, 11, v[0:1]
	s_mov_b64 s[10:11], 0
	s_mov_b64 s[8:9], 0
	;; [unrolled: 1-line block ×3, first 2 shown]
	s_and_saveexec_b64 s[2:3], vcc
	s_xor_b64 s[2:3], exec, s[2:3]
	s_cbranch_execnz .LBB16_151
; %bb.145:
	s_andn2_saveexec_b64 s[2:3], s[2:3]
	s_cbranch_execnz .LBB16_196
.LBB16_146:
	s_or_b64 exec, exec, s[2:3]
	s_and_saveexec_b64 s[2:3], s[10:11]
	s_cbranch_execnz .LBB16_213
.LBB16_147:
	s_or_b64 exec, exec, s[2:3]
	s_and_saveexec_b64 s[2:3], s[8:9]
	s_cbranch_execnz .LBB16_214
.LBB16_148:
	s_or_b64 exec, exec, s[2:3]
	s_and_saveexec_b64 s[2:3], s[4:5]
	s_xor_b64 s[2:3], exec, s[2:3]
	s_cbranch_execnz .LBB16_215
.LBB16_149:
	s_or_b64 exec, exec, s[2:3]
	s_and_b64 exec, exec, s[0:1]
	s_cbranch_execnz .LBB16_216
.LBB16_150:
	s_endpgm
.LBB16_151:
	v_cmp_lt_i64_e32 vcc, 17, v[0:1]
	s_and_saveexec_b64 s[12:13], vcc
	s_xor_b64 s[12:13], exec, s[12:13]
	s_cbranch_execz .LBB16_173
; %bb.152:
	v_cmp_lt_i64_e32 vcc, 20, v[0:1]
                                        ; implicit-def: $vgpr10
	s_and_saveexec_b64 s[14:15], vcc
	s_xor_b64 s[14:15], exec, s[14:15]
	s_cbranch_execz .LBB16_162
; %bb.153:
	v_cmp_lt_i64_e32 vcc, 21, v[0:1]
	s_mov_b64 s[16:17], 0
                                        ; implicit-def: $vgpr10
	s_and_saveexec_b64 s[4:5], vcc
	s_xor_b64 s[4:5], exec, s[4:5]
	s_cbranch_execz .LBB16_159
; %bb.154:
	v_cmp_lt_i64_e32 vcc, 22, v[0:1]
	s_and_saveexec_b64 s[16:17], vcc
	s_xor_b64 s[16:17], exec, s[16:17]
	s_cbranch_execz .LBB16_156
; %bb.155:
	v_mov_b32_e32 v2, 0
	global_store_byte v2, v28, s[6:7]
                                        ; implicit-def: $vgpr27
.LBB16_156:
	s_or_saveexec_b64 s[16:17], s[16:17]
	s_mov_b64 s[18:19], 0
	s_xor_b64 exec, exec, s[16:17]
; %bb.157:
	s_mov_b64 s[18:19], exec
; %bb.158:
	s_or_b64 exec, exec, s[16:17]
	s_and_b64 s[16:17], s[18:19], exec
	v_mov_b32_e32 v10, v27
                                        ; implicit-def: $vgpr11
.LBB16_159:
	s_andn2_saveexec_b64 s[4:5], s[4:5]
; %bb.160:
	s_mov_b64 s[8:9], exec
                                        ; implicit-def: $vgpr10
; %bb.161:
	s_or_b64 exec, exec, s[4:5]
	s_and_b64 s[4:5], s[16:17], exec
	s_and_b64 s[8:9], s[8:9], exec
                                        ; implicit-def: $vgpr25
                                        ; implicit-def: $vgpr12
                                        ; implicit-def: $vgpr22
.LBB16_162:
	s_andn2_saveexec_b64 s[14:15], s[14:15]
	s_cbranch_execz .LBB16_172
; %bb.163:
	v_cmp_lt_i64_e32 vcc, 18, v[0:1]
	s_mov_b64 s[16:17], 0
	s_and_saveexec_b64 s[10:11], vcc
	s_xor_b64 s[10:11], exec, s[10:11]
	s_cbranch_execz .LBB16_169
; %bb.164:
	v_cmp_lt_i64_e32 vcc, 19, v[0:1]
	s_and_saveexec_b64 s[18:19], vcc
	s_xor_b64 s[18:19], exec, s[18:19]
; %bb.165:
	s_mov_b64 s[16:17], exec
                                        ; implicit-def: $vgpr22
; %bb.166:
	s_andn2_saveexec_b64 s[18:19], s[18:19]
	s_cbranch_execz .LBB16_168
; %bb.167:
	v_mov_b32_e32 v2, 0
	global_store_byte v2, v22, s[6:7]
                                        ; implicit-def: $vgpr12
.LBB16_168:
	s_or_b64 exec, exec, s[18:19]
	s_and_b64 s[16:17], s[16:17], exec
                                        ; implicit-def: $vgpr25
.LBB16_169:
	s_andn2_saveexec_b64 s[10:11], s[10:11]
	s_cbranch_execz .LBB16_171
; %bb.170:
	v_mov_b32_e32 v2, 0
	global_store_byte v2, v25, s[6:7]
                                        ; implicit-def: $vgpr12
.LBB16_171:
	s_or_b64 exec, exec, s[10:11]
	s_and_b64 s[10:11], s[16:17], exec
                                        ; implicit-def: $vgpr10
                                        ; implicit-def: $vgpr11
.LBB16_172:
	s_or_b64 exec, exec, s[14:15]
	s_and_b64 s[4:5], s[4:5], exec
	s_and_b64 s[8:9], s[8:9], exec
	;; [unrolled: 1-line block ×3, first 2 shown]
                                        ; implicit-def: $vgpr19
                                        ; implicit-def: $vgpr13
                                        ; implicit-def: $vgpr15
                                        ; implicit-def: $vgpr23
                                        ; implicit-def: $vgpr26
.LBB16_173:
	s_andn2_saveexec_b64 s[12:13], s[12:13]
	s_cbranch_execz .LBB16_195
; %bb.174:
	v_cmp_lt_i64_e32 vcc, 14, v[0:1]
	s_mov_b64 s[14:15], s[4:5]
	s_and_saveexec_b64 s[16:17], vcc
	s_xor_b64 s[16:17], exec, s[16:17]
	s_cbranch_execz .LBB16_184
; %bb.175:
	v_cmp_lt_i64_e32 vcc, 15, v[0:1]
	s_and_saveexec_b64 s[14:15], vcc
	s_xor_b64 s[14:15], exec, s[14:15]
	s_cbranch_execz .LBB16_181
; %bb.176:
	v_cmp_lt_i64_e32 vcc, 16, v[0:1]
	s_and_saveexec_b64 s[18:19], vcc
	s_xor_b64 s[18:19], exec, s[18:19]
	s_cbranch_execz .LBB16_178
; %bb.177:
	v_mov_b32_e32 v2, 0
	global_store_byte v2, v26, s[6:7]
                                        ; implicit-def: $vgpr23
.LBB16_178:
	s_andn2_saveexec_b64 s[18:19], s[18:19]
	s_cbranch_execz .LBB16_180
; %bb.179:
	v_mov_b32_e32 v2, 0
	global_store_byte v2, v23, s[6:7]
.LBB16_180:
	s_or_b64 exec, exec, s[18:19]
                                        ; implicit-def: $vgpr10
.LBB16_181:
	s_or_saveexec_b64 s[14:15], s[14:15]
	s_mov_b64 s[18:19], s[4:5]
	s_xor_b64 exec, exec, s[14:15]
; %bb.182:
	s_or_b64 s[18:19], s[4:5], exec
; %bb.183:
	s_or_b64 exec, exec, s[14:15]
	s_andn2_b64 s[14:15], s[4:5], exec
	s_and_b64 s[18:19], s[18:19], exec
	s_or_b64 s[14:15], s[14:15], s[18:19]
                                        ; implicit-def: $vgpr19
                                        ; implicit-def: $vgpr13
                                        ; implicit-def: $vgpr15
.LBB16_184:
	s_or_saveexec_b64 s[16:17], s[16:17]
	s_mov_b64 s[18:19], s[8:9]
                                        ; implicit-def: $vgpr11
	s_xor_b64 exec, exec, s[16:17]
	s_cbranch_execz .LBB16_194
; %bb.185:
	v_cmp_lt_i64_e32 vcc, 12, v[0:1]
	s_mov_b64 s[20:21], s[8:9]
	s_mov_b64 s[22:23], s[14:15]
                                        ; implicit-def: $vgpr10
                                        ; implicit-def: $vgpr11
	s_and_saveexec_b64 s[18:19], vcc
	s_xor_b64 s[18:19], exec, s[18:19]
	s_cbranch_execz .LBB16_191
; %bb.186:
	v_cmp_lt_i64_e32 vcc, 13, v[0:1]
	s_mov_b64 s[20:21], s[14:15]
	s_and_saveexec_b64 s[22:23], vcc
	s_xor_b64 s[22:23], exec, s[22:23]
; %bb.187:
	s_or_b64 s[20:21], s[14:15], exec
                                        ; implicit-def: $vgpr13
; %bb.188:
	s_or_saveexec_b64 s[22:23], s[22:23]
	s_mov_b64 s[24:25], s[8:9]
	s_xor_b64 exec, exec, s[22:23]
; %bb.189:
	s_or_b64 s[24:25], s[8:9], exec
                                        ; implicit-def: $vgpr15
; %bb.190:
	s_or_b64 exec, exec, s[22:23]
	s_andn2_b64 s[22:23], s[14:15], exec
	s_and_b64 s[20:21], s[20:21], exec
	s_or_b64 s[22:23], s[22:23], s[20:21]
	s_andn2_b64 s[20:21], s[8:9], exec
	s_and_b64 s[24:25], s[24:25], exec
	s_or_b64 s[20:21], s[20:21], s[24:25]
	v_mov_b32_e32 v10, v15
	v_mov_b32_e32 v11, v13
                                        ; implicit-def: $vgpr19
.LBB16_191:
	s_andn2_saveexec_b64 s[18:19], s[18:19]
; %bb.192:
	s_or_b64 s[20:21], s[20:21], exec
                                        ; implicit-def: $vgpr10
	v_mov_b32_e32 v11, v19
; %bb.193:
	s_or_b64 exec, exec, s[18:19]
	s_andn2_b64 s[14:15], s[14:15], exec
	s_and_b64 s[18:19], s[22:23], exec
	s_or_b64 s[14:15], s[14:15], s[18:19]
	s_andn2_b64 s[18:19], s[8:9], exec
	s_and_b64 s[20:21], s[20:21], exec
	s_or_b64 s[18:19], s[18:19], s[20:21]
.LBB16_194:
	s_or_b64 exec, exec, s[16:17]
	s_andn2_b64 s[4:5], s[4:5], exec
	s_and_b64 s[14:15], s[14:15], exec
	s_or_b64 s[4:5], s[4:5], s[14:15]
	s_andn2_b64 s[8:9], s[8:9], exec
	s_and_b64 s[14:15], s[18:19], exec
	s_or_b64 s[8:9], s[8:9], s[14:15]
                                        ; implicit-def: $vgpr12
.LBB16_195:
	s_or_b64 exec, exec, s[12:13]
	s_and_b64 s[4:5], s[4:5], exec
	s_and_b64 s[8:9], s[8:9], exec
	;; [unrolled: 1-line block ×3, first 2 shown]
                                        ; implicit-def: $vgpr18
                                        ; implicit-def: $vgpr16
                                        ; implicit-def: $vgpr17
                                        ; implicit-def: $vgpr24
                                        ; implicit-def: $vgpr21
                                        ; implicit-def: $vgpr20
	s_andn2_saveexec_b64 s[2:3], s[2:3]
	s_cbranch_execz .LBB16_146
.LBB16_196:
	v_cmp_lt_i64_e32 vcc, 5, v[0:1]
	s_mov_b64 s[14:15], -1
	s_mov_b64 s[12:13], s[10:11]
	s_mov_b64 s[16:17], s[8:9]
	;; [unrolled: 1-line block ×3, first 2 shown]
                                        ; implicit-def: $vgpr10
                                        ; implicit-def: $vgpr11
                                        ; implicit-def: $vgpr12
	s_and_saveexec_b64 s[0:1], vcc
	s_cbranch_execz .LBB16_212
; %bb.197:
	v_cmp_lt_i64_e32 vcc, 8, v[0:1]
	s_mov_b64 s[12:13], s[10:11]
                                        ; implicit-def: $vgpr12
	s_and_saveexec_b64 s[14:15], vcc
	s_xor_b64 s[14:15], exec, s[14:15]
	s_cbranch_execz .LBB16_207
; %bb.198:
	v_cmp_lt_i64_e32 vcc, 9, v[0:1]
	s_and_saveexec_b64 s[12:13], vcc
	s_xor_b64 s[12:13], exec, s[12:13]
	s_cbranch_execz .LBB16_204
; %bb.199:
	v_cmp_lt_i64_e32 vcc, 10, v[0:1]
	s_and_saveexec_b64 s[16:17], vcc
	s_xor_b64 s[16:17], exec, s[16:17]
; %bb.200:
                                        ; implicit-def: $vgpr21
; %bb.201:
	s_andn2_saveexec_b64 s[16:17], s[16:17]
; %bb.202:
	v_mov_b32_e32 v20, v21
; %bb.203:
	s_or_b64 exec, exec, s[16:17]
                                        ; implicit-def: $vgpr24
.LBB16_204:
	s_andn2_saveexec_b64 s[12:13], s[12:13]
; %bb.205:
	v_mov_b32_e32 v20, v24
; %bb.206:
	s_or_b64 exec, exec, s[12:13]
	s_or_b64 s[12:13], s[10:11], exec
	v_mov_b32_e32 v12, v20
                                        ; implicit-def: $vgpr18
                                        ; implicit-def: $vgpr16
                                        ; implicit-def: $vgpr17
.LBB16_207:
	s_or_saveexec_b64 s[14:15], s[14:15]
	s_mov_b64 s[16:17], s[8:9]
	s_mov_b64 s[20:21], s[4:5]
                                        ; implicit-def: $vgpr10
                                        ; implicit-def: $vgpr11
	s_xor_b64 exec, exec, s[14:15]
	s_cbranch_execz .LBB16_211
; %bb.208:
	v_cmp_lt_i64_e32 vcc, 6, v[0:1]
	s_mov_b64 s[20:21], -1
	s_mov_b64 s[18:19], s[12:13]
	s_mov_b64 s[16:17], s[8:9]
	s_and_saveexec_b64 s[22:23], vcc
; %bb.209:
	v_cmp_lt_i64_e32 vcc, 7, v[0:1]
	s_andn2_b64 s[18:19], s[12:13], exec
	s_and_b64 s[24:25], vcc, exec
	s_xor_b64 s[20:21], exec, -1
	s_or_b64 s[16:17], s[8:9], exec
	s_or_b64 s[18:19], s[18:19], s[24:25]
                                        ; implicit-def: $vgpr18
; %bb.210:
	s_or_b64 exec, exec, s[22:23]
	s_andn2_b64 s[22:23], s[4:5], exec
	s_and_b64 s[20:21], s[20:21], exec
	s_or_b64 s[20:21], s[22:23], s[20:21]
	s_andn2_b64 s[22:23], s[8:9], exec
	s_and_b64 s[16:17], s[16:17], exec
	s_andn2_b64 s[12:13], s[12:13], exec
	s_and_b64 s[18:19], s[18:19], exec
	s_or_b64 s[16:17], s[22:23], s[16:17]
	s_or_b64 s[12:13], s[12:13], s[18:19]
	v_mov_b32_e32 v10, v18
	v_mov_b32_e32 v11, v16
	v_mov_b32_e32 v12, v17
.LBB16_211:
	s_or_b64 exec, exec, s[14:15]
	s_andn2_b64 s[18:19], s[4:5], exec
	s_and_b64 s[20:21], s[20:21], exec
	s_or_b64 s[18:19], s[18:19], s[20:21]
	s_andn2_b64 s[20:21], s[8:9], exec
	s_and_b64 s[16:17], s[16:17], exec
	s_or_b64 s[16:17], s[20:21], s[16:17]
	s_andn2_b64 s[20:21], s[10:11], exec
	s_and_b64 s[12:13], s[12:13], exec
	s_xor_b64 s[14:15], exec, -1
	s_or_b64 s[12:13], s[20:21], s[12:13]
.LBB16_212:
	s_or_b64 exec, exec, s[0:1]
	s_and_b64 s[0:1], s[14:15], exec
	s_andn2_b64 s[4:5], s[4:5], exec
	s_and_b64 s[14:15], s[18:19], exec
	s_or_b64 s[4:5], s[4:5], s[14:15]
	s_andn2_b64 s[8:9], s[8:9], exec
	s_and_b64 s[14:15], s[16:17], exec
	s_andn2_b64 s[10:11], s[10:11], exec
	s_and_b64 s[12:13], s[12:13], exec
	s_or_b64 s[8:9], s[8:9], s[14:15]
	s_or_b64 s[10:11], s[10:11], s[12:13]
	s_or_b64 exec, exec, s[2:3]
	s_and_saveexec_b64 s[2:3], s[10:11]
	s_cbranch_execz .LBB16_147
.LBB16_213:
	v_mov_b32_e32 v2, 0
	s_andn2_b64 s[8:9], s[8:9], exec
	global_store_byte v2, v12, s[6:7]
                                        ; implicit-def: $vgpr10
                                        ; implicit-def: $vgpr11
	s_or_b64 exec, exec, s[2:3]
	s_and_saveexec_b64 s[2:3], s[8:9]
	s_cbranch_execz .LBB16_148
.LBB16_214:
	v_mov_b32_e32 v2, 0
	global_store_byte v2, v11, s[6:7]
                                        ; implicit-def: $vgpr10
	s_or_b64 exec, exec, s[2:3]
	s_and_saveexec_b64 s[2:3], s[4:5]
	s_xor_b64 s[2:3], exec, s[2:3]
	s_cbranch_execz .LBB16_149
.LBB16_215:
	v_mov_b32_e32 v2, 0
	global_store_byte v2, v10, s[6:7]
	s_or_b64 exec, exec, s[2:3]
	s_and_b64 exec, exec, s[0:1]
	s_cbranch_execz .LBB16_150
.LBB16_216:
	v_cmp_lt_i64_e32 vcc, 2, v[0:1]
	s_and_saveexec_b64 s[0:1], vcc
	s_xor_b64 s[0:1], exec, s[0:1]
	s_cbranch_execz .LBB16_226
; %bb.217:
	v_cmp_lt_i64_e32 vcc, 3, v[0:1]
	s_and_saveexec_b64 s[2:3], vcc
	s_xor_b64 s[2:3], exec, s[2:3]
	s_cbranch_execz .LBB16_223
; %bb.218:
	;; [unrolled: 5-line block ×3, first 2 shown]
	v_mov_b32_e32 v0, 0
	global_store_byte v0, v9, s[6:7]
                                        ; implicit-def: $vgpr6
.LBB16_220:
	s_andn2_saveexec_b64 s[4:5], s[4:5]
	s_cbranch_execz .LBB16_222
; %bb.221:
	v_mov_b32_e32 v0, 0
	global_store_byte v0, v6, s[6:7]
.LBB16_222:
	s_or_b64 exec, exec, s[4:5]
                                        ; implicit-def: $vgpr8
.LBB16_223:
	s_andn2_saveexec_b64 s[2:3], s[2:3]
	s_cbranch_execz .LBB16_225
; %bb.224:
	v_mov_b32_e32 v0, 0
	global_store_byte v0, v8, s[6:7]
.LBB16_225:
	s_or_b64 exec, exec, s[2:3]
                                        ; implicit-def: $vgpr0_vgpr1
                                        ; implicit-def: $vgpr7
                                        ; implicit-def: $vgpr4
                                        ; implicit-def: $vgpr5
.LBB16_226:
	s_andn2_saveexec_b64 s[0:1], s[0:1]
	s_cbranch_execz .LBB16_150
; %bb.227:
	v_cmp_lt_i64_e32 vcc, 1, v[0:1]
	s_and_saveexec_b64 s[0:1], vcc
	s_xor_b64 s[0:1], exec, s[0:1]
	s_cbranch_execz .LBB16_229
; %bb.228:
	v_mov_b32_e32 v0, 0
	global_store_byte v0, v7, s[6:7]
                                        ; implicit-def: $vgpr4
                                        ; implicit-def: $vgpr0_vgpr1
                                        ; implicit-def: $vgpr5
.LBB16_229:
	s_andn2_saveexec_b64 s[0:1], s[0:1]
	s_cbranch_execz .LBB16_150
; %bb.230:
	v_cmp_ne_u64_e32 vcc, 1, v[0:1]
	s_and_saveexec_b64 s[0:1], vcc
	s_xor_b64 s[0:1], exec, s[0:1]
	s_cbranch_execz .LBB16_232
; %bb.231:
	v_mov_b32_e32 v0, 0
	global_store_byte v0, v5, s[6:7]
                                        ; implicit-def: $vgpr4
.LBB16_232:
	s_andn2_saveexec_b64 s[0:1], s[0:1]
	s_cbranch_execz .LBB16_150
; %bb.233:
	v_mov_b32_e32 v0, 0
	global_store_byte v0, v4, s[6:7]
	s_endpgm
	.section	.rodata,"a",@progbits
	.p2align	6, 0x0
	.amdhsa_kernel _ZN7rocprim17ROCPRIM_304000_NS6detail20lookback_scan_kernelILNS1_25lookback_scan_determinismE0ELb0ENS1_19wrapped_scan_configINS0_14default_configEaEEPKaPaSt4plusIaEaaNS1_19lookback_scan_stateIaLb0ELb1EEEEEvT2_T3_mT5_T4_T7_jPT6_SK_bb
		.amdhsa_group_segment_fixed_size 6144
		.amdhsa_private_segment_fixed_size 0
		.amdhsa_kernarg_size 68
		.amdhsa_user_sgpr_count 2
		.amdhsa_user_sgpr_dispatch_ptr 0
		.amdhsa_user_sgpr_queue_ptr 0
		.amdhsa_user_sgpr_kernarg_segment_ptr 1
		.amdhsa_user_sgpr_dispatch_id 0
		.amdhsa_user_sgpr_kernarg_preload_length 0
		.amdhsa_user_sgpr_kernarg_preload_offset 0
		.amdhsa_user_sgpr_private_segment_size 0
		.amdhsa_uses_dynamic_stack 0
		.amdhsa_enable_private_segment 0
		.amdhsa_system_sgpr_workgroup_id_x 1
		.amdhsa_system_sgpr_workgroup_id_y 0
		.amdhsa_system_sgpr_workgroup_id_z 0
		.amdhsa_system_sgpr_workgroup_info 0
		.amdhsa_system_vgpr_workitem_id 0
		.amdhsa_next_free_vgpr 53
		.amdhsa_next_free_sgpr 26
		.amdhsa_accum_offset 56
		.amdhsa_reserve_vcc 1
		.amdhsa_float_round_mode_32 0
		.amdhsa_float_round_mode_16_64 0
		.amdhsa_float_denorm_mode_32 3
		.amdhsa_float_denorm_mode_16_64 3
		.amdhsa_dx10_clamp 1
		.amdhsa_ieee_mode 1
		.amdhsa_fp16_overflow 0
		.amdhsa_tg_split 0
		.amdhsa_exception_fp_ieee_invalid_op 0
		.amdhsa_exception_fp_denorm_src 0
		.amdhsa_exception_fp_ieee_div_zero 0
		.amdhsa_exception_fp_ieee_overflow 0
		.amdhsa_exception_fp_ieee_underflow 0
		.amdhsa_exception_fp_ieee_inexact 0
		.amdhsa_exception_int_div_zero 0
	.end_amdhsa_kernel
	.section	.text._ZN7rocprim17ROCPRIM_304000_NS6detail20lookback_scan_kernelILNS1_25lookback_scan_determinismE0ELb0ENS1_19wrapped_scan_configINS0_14default_configEaEEPKaPaSt4plusIaEaaNS1_19lookback_scan_stateIaLb0ELb1EEEEEvT2_T3_mT5_T4_T7_jPT6_SK_bb,"axG",@progbits,_ZN7rocprim17ROCPRIM_304000_NS6detail20lookback_scan_kernelILNS1_25lookback_scan_determinismE0ELb0ENS1_19wrapped_scan_configINS0_14default_configEaEEPKaPaSt4plusIaEaaNS1_19lookback_scan_stateIaLb0ELb1EEEEEvT2_T3_mT5_T4_T7_jPT6_SK_bb,comdat
.Lfunc_end16:
	.size	_ZN7rocprim17ROCPRIM_304000_NS6detail20lookback_scan_kernelILNS1_25lookback_scan_determinismE0ELb0ENS1_19wrapped_scan_configINS0_14default_configEaEEPKaPaSt4plusIaEaaNS1_19lookback_scan_stateIaLb0ELb1EEEEEvT2_T3_mT5_T4_T7_jPT6_SK_bb, .Lfunc_end16-_ZN7rocprim17ROCPRIM_304000_NS6detail20lookback_scan_kernelILNS1_25lookback_scan_determinismE0ELb0ENS1_19wrapped_scan_configINS0_14default_configEaEEPKaPaSt4plusIaEaaNS1_19lookback_scan_stateIaLb0ELb1EEEEEvT2_T3_mT5_T4_T7_jPT6_SK_bb
                                        ; -- End function
	.section	.AMDGPU.csdata,"",@progbits
; Kernel info:
; codeLenInByte = 8492
; NumSgprs: 32
; NumVgprs: 53
; NumAgprs: 0
; TotalNumVgprs: 53
; ScratchSize: 0
; MemoryBound: 0
; FloatMode: 240
; IeeeMode: 1
; LDSByteSize: 6144 bytes/workgroup (compile time only)
; SGPRBlocks: 3
; VGPRBlocks: 6
; NumSGPRsForWavesPerEU: 32
; NumVGPRsForWavesPerEU: 53
; AccumOffset: 56
; Occupancy: 8
; WaveLimiterHint : 1
; COMPUTE_PGM_RSRC2:SCRATCH_EN: 0
; COMPUTE_PGM_RSRC2:USER_SGPR: 2
; COMPUTE_PGM_RSRC2:TRAP_HANDLER: 0
; COMPUTE_PGM_RSRC2:TGID_X_EN: 1
; COMPUTE_PGM_RSRC2:TGID_Y_EN: 0
; COMPUTE_PGM_RSRC2:TGID_Z_EN: 0
; COMPUTE_PGM_RSRC2:TIDIG_COMP_CNT: 0
; COMPUTE_PGM_RSRC3_GFX90A:ACCUM_OFFSET: 13
; COMPUTE_PGM_RSRC3_GFX90A:TG_SPLIT: 0
	.section	.text._ZN7rocprim17ROCPRIM_304000_NS6detail16transform_kernelINS1_24wrapped_transform_configINS0_14default_configEaEEaPaS6_NS0_8identityIaEEEEvT1_mT2_T3_,"axG",@progbits,_ZN7rocprim17ROCPRIM_304000_NS6detail16transform_kernelINS1_24wrapped_transform_configINS0_14default_configEaEEaPaS6_NS0_8identityIaEEEEvT1_mT2_T3_,comdat
	.protected	_ZN7rocprim17ROCPRIM_304000_NS6detail16transform_kernelINS1_24wrapped_transform_configINS0_14default_configEaEEaPaS6_NS0_8identityIaEEEEvT1_mT2_T3_ ; -- Begin function _ZN7rocprim17ROCPRIM_304000_NS6detail16transform_kernelINS1_24wrapped_transform_configINS0_14default_configEaEEaPaS6_NS0_8identityIaEEEEvT1_mT2_T3_
	.globl	_ZN7rocprim17ROCPRIM_304000_NS6detail16transform_kernelINS1_24wrapped_transform_configINS0_14default_configEaEEaPaS6_NS0_8identityIaEEEEvT1_mT2_T3_
	.p2align	8
	.type	_ZN7rocprim17ROCPRIM_304000_NS6detail16transform_kernelINS1_24wrapped_transform_configINS0_14default_configEaEEaPaS6_NS0_8identityIaEEEEvT1_mT2_T3_,@function
_ZN7rocprim17ROCPRIM_304000_NS6detail16transform_kernelINS1_24wrapped_transform_configINS0_14default_configEaEEaPaS6_NS0_8identityIaEEEEvT1_mT2_T3_: ; @_ZN7rocprim17ROCPRIM_304000_NS6detail16transform_kernelINS1_24wrapped_transform_configINS0_14default_configEaEEaPaS6_NS0_8identityIaEEEEvT1_mT2_T3_
; %bb.0:
	s_load_dword s3, s[0:1], 0x20
	s_load_dwordx4 s[4:7], s[0:1], 0x0
	s_load_dwordx2 s[30:31], s[0:1], 0x10
	s_lshl_b32 s33, s2, 12
	v_mov_b32_e32 v1, 0
	s_waitcnt lgkmcnt(0)
	s_add_i32 s3, s3, -1
	s_add_u32 s0, s4, s33
	s_addc_u32 s1, s5, 0
	s_cmp_lg_u32 s2, s3
	v_lshl_add_u64 v[2:3], s[0:1], 0, v[0:1]
	s_cbranch_scc0 .LBB17_2
; %bb.1:
	global_load_ubyte v4, v[2:3], off
	global_load_ubyte v8, v[2:3], off offset:256
	global_load_ubyte v9, v[2:3], off offset:512
	;; [unrolled: 1-line block ×15, first 2 shown]
	s_add_u32 s2, s30, s33
	s_addc_u32 s3, s31, 0
	v_lshl_add_u64 v[6:7], s[2:3], 0, v[0:1]
	s_mov_b64 s[34:35], -1
	s_waitcnt vmcnt(15)
	global_store_byte v[6:7], v4, off
	s_waitcnt vmcnt(15)
	global_store_byte v[6:7], v8, off offset:256
	s_waitcnt vmcnt(15)
	global_store_byte v[6:7], v9, off offset:512
	;; [unrolled: 2-line block ×14, first 2 shown]
	s_cbranch_execz .LBB17_3
	s_branch .LBB17_68
.LBB17_2:
	s_mov_b64 s[34:35], 0
                                        ; implicit-def: $vgpr5
.LBB17_3:
	s_sub_i32 s36, s6, s33
	v_cmp_gt_u32_e32 vcc, s36, v0
                                        ; implicit-def: $vgpr4
	s_and_saveexec_b64 s[0:1], vcc
	s_cbranch_execz .LBB17_5
; %bb.4:
	global_load_ubyte v4, v[2:3], off
.LBB17_5:
	s_or_b64 exec, exec, s[0:1]
	s_waitcnt vmcnt(15)
	v_or_b32_e32 v5, 0x100, v0
	v_cmp_gt_u32_e64 s[0:1], s36, v5
                                        ; implicit-def: $vgpr5
	s_and_saveexec_b64 s[2:3], s[0:1]
	s_cbranch_execz .LBB17_7
; %bb.6:
	global_load_ubyte v5, v[2:3], off offset:256
.LBB17_7:
	s_or_b64 exec, exec, s[2:3]
	v_or_b32_e32 v6, 0x200, v0
	v_cmp_gt_u32_e64 s[2:3], s36, v6
                                        ; implicit-def: $vgpr6
	s_and_saveexec_b64 s[4:5], s[2:3]
	s_cbranch_execz .LBB17_9
; %bb.8:
	global_load_ubyte v6, v[2:3], off offset:512
.LBB17_9:
	s_or_b64 exec, exec, s[4:5]
	v_or_b32_e32 v7, 0x300, v0
	v_cmp_gt_u32_e64 s[4:5], s36, v7
                                        ; implicit-def: $vgpr7
	s_and_saveexec_b64 s[6:7], s[4:5]
	s_cbranch_execz .LBB17_11
; %bb.10:
	global_load_ubyte v7, v[2:3], off offset:768
.LBB17_11:
	s_or_b64 exec, exec, s[6:7]
	v_or_b32_e32 v8, 0x400, v0
	v_cmp_gt_u32_e64 s[6:7], s36, v8
                                        ; implicit-def: $vgpr8
	s_and_saveexec_b64 s[8:9], s[6:7]
	s_cbranch_execz .LBB17_13
; %bb.12:
	global_load_ubyte v8, v[2:3], off offset:1024
.LBB17_13:
	s_or_b64 exec, exec, s[8:9]
	v_or_b32_e32 v9, 0x500, v0
	v_cmp_gt_u32_e64 s[8:9], s36, v9
                                        ; implicit-def: $vgpr9
	s_and_saveexec_b64 s[10:11], s[8:9]
	s_cbranch_execz .LBB17_15
; %bb.14:
	global_load_ubyte v9, v[2:3], off offset:1280
.LBB17_15:
	s_or_b64 exec, exec, s[10:11]
	v_or_b32_e32 v10, 0x600, v0
	v_cmp_gt_u32_e64 s[10:11], s36, v10
                                        ; implicit-def: $vgpr10
	s_and_saveexec_b64 s[12:13], s[10:11]
	s_cbranch_execz .LBB17_17
; %bb.16:
	global_load_ubyte v10, v[2:3], off offset:1536
.LBB17_17:
	s_or_b64 exec, exec, s[12:13]
	v_or_b32_e32 v11, 0x700, v0
	v_cmp_gt_u32_e64 s[12:13], s36, v11
                                        ; implicit-def: $vgpr11
	s_and_saveexec_b64 s[14:15], s[12:13]
	s_cbranch_execz .LBB17_19
; %bb.18:
	global_load_ubyte v11, v[2:3], off offset:1792
.LBB17_19:
	s_or_b64 exec, exec, s[14:15]
	v_or_b32_e32 v12, 0x800, v0
	v_cmp_gt_u32_e64 s[14:15], s36, v12
                                        ; implicit-def: $vgpr12
	s_and_saveexec_b64 s[16:17], s[14:15]
	s_cbranch_execz .LBB17_21
; %bb.20:
	global_load_ubyte v12, v[2:3], off offset:2048
.LBB17_21:
	s_or_b64 exec, exec, s[16:17]
	v_or_b32_e32 v13, 0x900, v0
	v_cmp_gt_u32_e64 s[16:17], s36, v13
                                        ; implicit-def: $vgpr13
	s_and_saveexec_b64 s[18:19], s[16:17]
	s_cbranch_execz .LBB17_23
; %bb.22:
	global_load_ubyte v13, v[2:3], off offset:2304
.LBB17_23:
	s_or_b64 exec, exec, s[18:19]
	v_or_b32_e32 v14, 0xa00, v0
	v_cmp_gt_u32_e64 s[18:19], s36, v14
                                        ; implicit-def: $vgpr14
	s_and_saveexec_b64 s[20:21], s[18:19]
	s_cbranch_execz .LBB17_25
; %bb.24:
	global_load_ubyte v14, v[2:3], off offset:2560
.LBB17_25:
	s_or_b64 exec, exec, s[20:21]
	v_or_b32_e32 v15, 0xb00, v0
	v_cmp_gt_u32_e64 s[20:21], s36, v15
                                        ; implicit-def: $vgpr15
	s_and_saveexec_b64 s[22:23], s[20:21]
	s_cbranch_execz .LBB17_27
; %bb.26:
	global_load_ubyte v15, v[2:3], off offset:2816
.LBB17_27:
	s_or_b64 exec, exec, s[22:23]
	v_or_b32_e32 v16, 0xc00, v0
	v_cmp_gt_u32_e64 s[22:23], s36, v16
                                        ; implicit-def: $vgpr16
	s_and_saveexec_b64 s[24:25], s[22:23]
	s_cbranch_execz .LBB17_29
; %bb.28:
	global_load_ubyte v16, v[2:3], off offset:3072
.LBB17_29:
	s_or_b64 exec, exec, s[24:25]
	v_or_b32_e32 v17, 0xd00, v0
	v_cmp_gt_u32_e64 s[24:25], s36, v17
                                        ; implicit-def: $vgpr17
	s_and_saveexec_b64 s[26:27], s[24:25]
	s_cbranch_execz .LBB17_31
; %bb.30:
	global_load_ubyte v17, v[2:3], off offset:3328
.LBB17_31:
	s_or_b64 exec, exec, s[26:27]
	v_or_b32_e32 v18, 0xe00, v0
	v_cmp_gt_u32_e64 s[26:27], s36, v18
                                        ; implicit-def: $vgpr18
	s_and_saveexec_b64 s[28:29], s[26:27]
	s_cbranch_execz .LBB17_33
; %bb.32:
	global_load_ubyte v18, v[2:3], off offset:3584
.LBB17_33:
	s_or_b64 exec, exec, s[28:29]
	v_or_b32_e32 v19, 0xf00, v0
	v_cmp_gt_u32_e64 s[28:29], s36, v19
                                        ; implicit-def: $vgpr19
	s_and_saveexec_b64 s[36:37], s[28:29]
	s_cbranch_execz .LBB17_35
; %bb.34:
	global_load_ubyte v19, v[2:3], off offset:3840
.LBB17_35:
	s_or_b64 exec, exec, s[36:37]
	s_waitcnt vmcnt(0)
	v_lshlrev_b16_e32 v2, 8, v5
	v_lshlrev_b16_e32 v3, 8, v7
	v_or_b32_sdwa v2, v4, v2 dst_sel:DWORD dst_unused:UNUSED_PAD src0_sel:BYTE_0 src1_sel:DWORD
	v_or_b32_sdwa v3, v6, v3 dst_sel:WORD_1 dst_unused:UNUSED_PAD src0_sel:BYTE_0 src1_sel:DWORD
	s_add_u32 s36, s30, s33
	v_or_b32_sdwa v7, v2, v3 dst_sel:DWORD dst_unused:UNUSED_PAD src0_sel:WORD_0 src1_sel:DWORD
	v_lshlrev_b16_e32 v2, 8, v9
	v_lshlrev_b16_e32 v3, 8, v11
	v_or_b32_sdwa v2, v8, v2 dst_sel:DWORD dst_unused:UNUSED_PAD src0_sel:BYTE_0 src1_sel:DWORD
	v_or_b32_sdwa v3, v10, v3 dst_sel:WORD_1 dst_unused:UNUSED_PAD src0_sel:BYTE_0 src1_sel:DWORD
	s_addc_u32 s37, s31, 0
	v_or_b32_sdwa v6, v2, v3 dst_sel:DWORD dst_unused:UNUSED_PAD src0_sel:WORD_0 src1_sel:DWORD
	v_lshlrev_b16_e32 v2, 8, v13
	v_lshlrev_b16_e32 v3, 8, v15
	v_or_b32_sdwa v2, v12, v2 dst_sel:DWORD dst_unused:UNUSED_PAD src0_sel:BYTE_0 src1_sel:DWORD
	v_or_b32_sdwa v3, v14, v3 dst_sel:WORD_1 dst_unused:UNUSED_PAD src0_sel:BYTE_0 src1_sel:DWORD
	s_nop 0
	v_or_b32_sdwa v5, v2, v3 dst_sel:DWORD dst_unused:UNUSED_PAD src0_sel:WORD_0 src1_sel:DWORD
	v_lshlrev_b16_e32 v2, 8, v17
	v_lshlrev_b16_e32 v3, 8, v19
	v_or_b32_sdwa v2, v16, v2 dst_sel:DWORD dst_unused:UNUSED_PAD src0_sel:BYTE_0 src1_sel:DWORD
	v_or_b32_sdwa v3, v18, v3 dst_sel:WORD_1 dst_unused:UNUSED_PAD src0_sel:BYTE_0 src1_sel:DWORD
	s_nop 0
	v_or_b32_sdwa v4, v2, v3 dst_sel:DWORD dst_unused:UNUSED_PAD src0_sel:WORD_0 src1_sel:DWORD
	v_lshl_add_u64 v[2:3], s[36:37], 0, v[0:1]
	s_and_saveexec_b64 s[36:37], vcc
	s_cbranch_execz .LBB17_37
; %bb.36:
	global_store_byte v[2:3], v7, off
.LBB17_37:
	s_or_b64 exec, exec, s[36:37]
	s_and_saveexec_b64 s[36:37], s[0:1]
	s_cbranch_execz .LBB17_39
; %bb.38:
	v_lshrrev_b32_e32 v8, 8, v7
	global_store_byte v[2:3], v8, off offset:256
.LBB17_39:
	s_or_b64 exec, exec, s[36:37]
	s_mov_b32 s0, 0x7060104
	v_perm_b32 v8, v7, v7, s0
	v_cndmask_b32_e64 v9, v8, v7, s[2:3]
	s_and_saveexec_b64 s[0:1], s[2:3]
	s_cbranch_execz .LBB17_41
; %bb.40:
	global_store_byte_d16_hi v[2:3], v9, off offset:512
.LBB17_41:
	s_or_b64 exec, exec, s[0:1]
	s_mov_b32 s0, 0x7020504
	v_perm_b32 v8, v8, v9, s0
	v_cndmask_b32_e64 v7, v8, v7, s[4:5]
	s_and_saveexec_b64 s[0:1], s[4:5]
	s_cbranch_execz .LBB17_43
; %bb.42:
	v_lshrrev_b32_e32 v7, 24, v7
	global_store_byte v[2:3], v7, off offset:768
.LBB17_43:
	s_or_b64 exec, exec, s[0:1]
	s_and_saveexec_b64 s[0:1], s[6:7]
	s_cbranch_execz .LBB17_45
; %bb.44:
	global_store_byte v[2:3], v6, off offset:1024
.LBB17_45:
	s_or_b64 exec, exec, s[0:1]
	s_mov_b32 s0, 0x3020104
	v_perm_b32 v7, v6, v6, s0
	v_cndmask_b32_e64 v8, v7, v6, s[8:9]
	s_and_saveexec_b64 s[0:1], s[8:9]
	s_cbranch_execz .LBB17_47
; %bb.46:
	v_lshrrev_b32_e32 v9, 8, v8
	global_store_byte v[2:3], v9, off offset:1280
.LBB17_47:
	s_or_b64 exec, exec, s[0:1]
	s_mov_b32 s0, 0x7060104
	v_perm_b32 v7, v7, v8, s0
	v_cndmask_b32_e64 v8, v7, v6, s[10:11]
	s_and_saveexec_b64 s[0:1], s[10:11]
	s_cbranch_execz .LBB17_49
; %bb.48:
	global_store_byte_d16_hi v[2:3], v8, off offset:1536
.LBB17_49:
	s_or_b64 exec, exec, s[0:1]
	s_mov_b32 s0, 0x7020504
	v_perm_b32 v7, v7, v8, s0
	v_cndmask_b32_e64 v6, v7, v6, s[12:13]
	s_and_saveexec_b64 s[0:1], s[12:13]
	s_cbranch_execz .LBB17_51
; %bb.50:
	v_lshrrev_b32_e32 v6, 24, v6
	global_store_byte v[2:3], v6, off offset:1792
.LBB17_51:
	s_or_b64 exec, exec, s[0:1]
	s_and_saveexec_b64 s[0:1], s[14:15]
	s_cbranch_execz .LBB17_53
; %bb.52:
	global_store_byte v[2:3], v5, off offset:2048
.LBB17_53:
	s_or_b64 exec, exec, s[0:1]
	s_mov_b32 s0, 0x3020104
	v_perm_b32 v6, v5, v5, s0
	v_cndmask_b32_e64 v7, v6, v5, s[16:17]
	;; [unrolled: 35-line block ×3, first 2 shown]
	s_and_saveexec_b64 s[0:1], s[24:25]
	s_cbranch_execz .LBB17_63
; %bb.62:
	v_lshrrev_b32_e32 v7, 8, v6
	global_store_byte v[2:3], v7, off offset:3328
.LBB17_63:
	s_or_b64 exec, exec, s[0:1]
	s_mov_b32 s0, 0x7060104
	v_perm_b32 v6, v5, v6, s0
	s_and_saveexec_b64 s[0:1], s[26:27]
	s_cbranch_execz .LBB17_65
; %bb.64:
	v_cndmask_b32_e64 v5, v6, v4, s[26:27]
	global_store_byte_d16_hi v[2:3], v5, off offset:3584
.LBB17_65:
	s_or_b64 exec, exec, s[0:1]
                                        ; implicit-def: $vgpr5
	s_and_saveexec_b64 s[0:1], s[28:29]
; %bb.66:
	v_cndmask_b32_e64 v2, v6, v4, s[28:29]
	v_lshrrev_b32_e32 v5, 24, v2
	s_or_b64 s[34:35], s[34:35], exec
; %bb.67:
	s_or_b64 exec, exec, s[0:1]
.LBB17_68:
	s_and_saveexec_b64 s[0:1], s[34:35]
	s_cbranch_execnz .LBB17_70
; %bb.69:
	s_endpgm
.LBB17_70:
	s_add_u32 s0, s30, s33
	s_addc_u32 s1, s31, 0
	v_lshl_add_u64 v[0:1], s[0:1], 0, v[0:1]
	s_waitcnt vmcnt(15)
	global_store_byte v[0:1], v5, off offset:3840
	s_endpgm
	.section	.rodata,"a",@progbits
	.p2align	6, 0x0
	.amdhsa_kernel _ZN7rocprim17ROCPRIM_304000_NS6detail16transform_kernelINS1_24wrapped_transform_configINS0_14default_configEaEEaPaS6_NS0_8identityIaEEEEvT1_mT2_T3_
		.amdhsa_group_segment_fixed_size 0
		.amdhsa_private_segment_fixed_size 0
		.amdhsa_kernarg_size 288
		.amdhsa_user_sgpr_count 2
		.amdhsa_user_sgpr_dispatch_ptr 0
		.amdhsa_user_sgpr_queue_ptr 0
		.amdhsa_user_sgpr_kernarg_segment_ptr 1
		.amdhsa_user_sgpr_dispatch_id 0
		.amdhsa_user_sgpr_kernarg_preload_length 0
		.amdhsa_user_sgpr_kernarg_preload_offset 0
		.amdhsa_user_sgpr_private_segment_size 0
		.amdhsa_uses_dynamic_stack 0
		.amdhsa_enable_private_segment 0
		.amdhsa_system_sgpr_workgroup_id_x 1
		.amdhsa_system_sgpr_workgroup_id_y 0
		.amdhsa_system_sgpr_workgroup_id_z 0
		.amdhsa_system_sgpr_workgroup_info 0
		.amdhsa_system_vgpr_workitem_id 0
		.amdhsa_next_free_vgpr 22
		.amdhsa_next_free_sgpr 38
		.amdhsa_accum_offset 24
		.amdhsa_reserve_vcc 1
		.amdhsa_float_round_mode_32 0
		.amdhsa_float_round_mode_16_64 0
		.amdhsa_float_denorm_mode_32 3
		.amdhsa_float_denorm_mode_16_64 3
		.amdhsa_dx10_clamp 1
		.amdhsa_ieee_mode 1
		.amdhsa_fp16_overflow 0
		.amdhsa_tg_split 0
		.amdhsa_exception_fp_ieee_invalid_op 0
		.amdhsa_exception_fp_denorm_src 0
		.amdhsa_exception_fp_ieee_div_zero 0
		.amdhsa_exception_fp_ieee_overflow 0
		.amdhsa_exception_fp_ieee_underflow 0
		.amdhsa_exception_fp_ieee_inexact 0
		.amdhsa_exception_int_div_zero 0
	.end_amdhsa_kernel
	.section	.text._ZN7rocprim17ROCPRIM_304000_NS6detail16transform_kernelINS1_24wrapped_transform_configINS0_14default_configEaEEaPaS6_NS0_8identityIaEEEEvT1_mT2_T3_,"axG",@progbits,_ZN7rocprim17ROCPRIM_304000_NS6detail16transform_kernelINS1_24wrapped_transform_configINS0_14default_configEaEEaPaS6_NS0_8identityIaEEEEvT1_mT2_T3_,comdat
.Lfunc_end17:
	.size	_ZN7rocprim17ROCPRIM_304000_NS6detail16transform_kernelINS1_24wrapped_transform_configINS0_14default_configEaEEaPaS6_NS0_8identityIaEEEEvT1_mT2_T3_, .Lfunc_end17-_ZN7rocprim17ROCPRIM_304000_NS6detail16transform_kernelINS1_24wrapped_transform_configINS0_14default_configEaEEaPaS6_NS0_8identityIaEEEEvT1_mT2_T3_
                                        ; -- End function
	.section	.AMDGPU.csdata,"",@progbits
; Kernel info:
; codeLenInByte = 1768
; NumSgprs: 44
; NumVgprs: 22
; NumAgprs: 0
; TotalNumVgprs: 22
; ScratchSize: 0
; MemoryBound: 0
; FloatMode: 240
; IeeeMode: 1
; LDSByteSize: 0 bytes/workgroup (compile time only)
; SGPRBlocks: 5
; VGPRBlocks: 2
; NumSGPRsForWavesPerEU: 44
; NumVGPRsForWavesPerEU: 22
; AccumOffset: 24
; Occupancy: 8
; WaveLimiterHint : 1
; COMPUTE_PGM_RSRC2:SCRATCH_EN: 0
; COMPUTE_PGM_RSRC2:USER_SGPR: 2
; COMPUTE_PGM_RSRC2:TRAP_HANDLER: 0
; COMPUTE_PGM_RSRC2:TGID_X_EN: 1
; COMPUTE_PGM_RSRC2:TGID_Y_EN: 0
; COMPUTE_PGM_RSRC2:TGID_Z_EN: 0
; COMPUTE_PGM_RSRC2:TIDIG_COMP_CNT: 0
; COMPUTE_PGM_RSRC3_GFX90A:ACCUM_OFFSET: 5
; COMPUTE_PGM_RSRC3_GFX90A:TG_SPLIT: 0
	.section	.text._ZN7rocprim17ROCPRIM_304000_NS6detail18single_scan_kernelILb0ENS1_19wrapped_scan_configINS0_14default_configEaEEPKaPaSt4plusIaEaaEEvT1_mT4_T2_T3_,"axG",@progbits,_ZN7rocprim17ROCPRIM_304000_NS6detail18single_scan_kernelILb0ENS1_19wrapped_scan_configINS0_14default_configEaEEPKaPaSt4plusIaEaaEEvT1_mT4_T2_T3_,comdat
	.protected	_ZN7rocprim17ROCPRIM_304000_NS6detail18single_scan_kernelILb0ENS1_19wrapped_scan_configINS0_14default_configEaEEPKaPaSt4plusIaEaaEEvT1_mT4_T2_T3_ ; -- Begin function _ZN7rocprim17ROCPRIM_304000_NS6detail18single_scan_kernelILb0ENS1_19wrapped_scan_configINS0_14default_configEaEEPKaPaSt4plusIaEaaEEvT1_mT4_T2_T3_
	.globl	_ZN7rocprim17ROCPRIM_304000_NS6detail18single_scan_kernelILb0ENS1_19wrapped_scan_configINS0_14default_configEaEEPKaPaSt4plusIaEaaEEvT1_mT4_T2_T3_
	.p2align	8
	.type	_ZN7rocprim17ROCPRIM_304000_NS6detail18single_scan_kernelILb0ENS1_19wrapped_scan_configINS0_14default_configEaEEPKaPaSt4plusIaEaaEEvT1_mT4_T2_T3_,@function
_ZN7rocprim17ROCPRIM_304000_NS6detail18single_scan_kernelILb0ENS1_19wrapped_scan_configINS0_14default_configEaEEPKaPaSt4plusIaEaaEEvT1_mT4_T2_T3_: ; @_ZN7rocprim17ROCPRIM_304000_NS6detail18single_scan_kernelILb0ENS1_19wrapped_scan_configINS0_14default_configEaEEPKaPaSt4plusIaEaaEEvT1_mT4_T2_T3_
; %bb.0:
	s_load_dwordx4 s[48:51], s[0:1], 0x0
	v_mov_b32_e32 v1, 0
	s_waitcnt lgkmcnt(0)
	global_load_ubyte v4, v1, s[48:49]
	v_lshl_add_u64 v[2:3], s[48:49], 0, v[0:1]
	v_cmp_gt_u32_e64 s[38:39], s50, v0
	s_waitcnt vmcnt(0)
	v_mov_b32_e32 v5, v4
	s_and_saveexec_b64 s[2:3], s[38:39]
	s_cbranch_execz .LBB18_2
; %bb.1:
	global_load_ubyte v5, v[2:3], off
.LBB18_2:
	s_or_b64 exec, exec, s[2:3]
	v_or_b32_e32 v6, 0x100, v0
	v_cmp_gt_u32_e64 s[2:3], s50, v6
	v_mov_b32_e32 v6, v4
	s_and_saveexec_b64 s[4:5], s[2:3]
	s_cbranch_execz .LBB18_4
; %bb.3:
	global_load_ubyte v6, v[2:3], off offset:256
.LBB18_4:
	s_or_b64 exec, exec, s[4:5]
	v_or_b32_e32 v7, 0x200, v0
	v_cmp_gt_u32_e64 s[4:5], s50, v7
	v_mov_b32_e32 v7, v4
	s_and_saveexec_b64 s[6:7], s[4:5]
	s_cbranch_execz .LBB18_6
; %bb.5:
	global_load_ubyte v7, v[2:3], off offset:512
.LBB18_6:
	;; [unrolled: 9-line block ×15, first 2 shown]
	s_or_b64 exec, exec, s[34:35]
	v_or_b32_e32 v21, 0x1000, v0
	v_cmp_gt_u32_e64 s[34:35], s50, v21
	v_mov_b32_e32 v21, v4
	s_and_saveexec_b64 s[36:37], s[34:35]
	s_cbranch_execz .LBB18_34
; %bb.33:
	v_add_co_u32_e32 v22, vcc, 0x1000, v2
	s_nop 1
	v_addc_co_u32_e32 v23, vcc, 0, v3, vcc
	global_load_ubyte v21, v[22:23], off
.LBB18_34:
	s_or_b64 exec, exec, s[36:37]
	v_or_b32_e32 v22, 0x1100, v0
	v_cmp_gt_u32_e64 s[36:37], s50, v22
	v_mov_b32_e32 v22, v4
	s_and_saveexec_b64 s[40:41], s[36:37]
	s_cbranch_execz .LBB18_36
; %bb.35:
	v_add_co_u32_e32 v22, vcc, 0x1000, v2
	s_nop 1
	v_addc_co_u32_e32 v23, vcc, 0, v3, vcc
	global_load_ubyte v22, v[22:23], off offset:256
.LBB18_36:
	s_or_b64 exec, exec, s[40:41]
	v_or_b32_e32 v23, 0x1200, v0
	v_cmp_gt_u32_e64 s[40:41], s50, v23
	v_mov_b32_e32 v23, v4
	s_and_saveexec_b64 s[42:43], s[40:41]
	s_cbranch_execz .LBB18_38
; %bb.37:
	v_add_co_u32_e32 v24, vcc, 0x1000, v2
	s_nop 1
	v_addc_co_u32_e32 v25, vcc, 0, v3, vcc
	global_load_ubyte v23, v[24:25], off offset:512
.LBB18_38:
	;; [unrolled: 12-line block ×6, first 2 shown]
	s_or_b64 exec, exec, s[52:53]
	v_or_b32_e32 v28, 0x1700, v0
	v_cmp_gt_u32_e64 s[50:51], s50, v28
	s_and_saveexec_b64 s[52:53], s[50:51]
	s_cbranch_execz .LBB18_48
; %bb.47:
	v_add_co_u32_e32 v2, vcc, 0x1000, v2
	s_nop 1
	v_addc_co_u32_e32 v3, vcc, 0, v3, vcc
	global_load_ubyte v4, v[2:3], off offset:1792
.LBB18_48:
	s_or_b64 exec, exec, s[52:53]
	s_waitcnt vmcnt(0)
	ds_write_b8 v0, v5
	ds_write_b8 v0, v6 offset:256
	ds_write_b8 v0, v7 offset:512
	;; [unrolled: 1-line block ×23, first 2 shown]
	v_mad_u32_u24 v6, v0, 23, v0
	s_waitcnt lgkmcnt(0)
	s_barrier
	ds_read2_b64 v[2:5], v6 offset1:1
	ds_read_b64 v[6:7], v6 offset:16
	s_waitcnt lgkmcnt(0)
	s_barrier
	v_lshrrev_b32_e32 v13, 8, v2
	v_add_u16_e32 v14, v13, v2
	v_add_u16_sdwa v14, v14, v2 dst_sel:DWORD dst_unused:UNUSED_PAD src0_sel:DWORD src1_sel:WORD_1
	v_add_u16_sdwa v14, v14, v2 dst_sel:DWORD dst_unused:UNUSED_PAD src0_sel:DWORD src1_sel:BYTE_3
	v_lshrrev_b32_e32 v12, 8, v3
	v_add_u16_e32 v14, v14, v3
	v_add_u16_e32 v14, v14, v12
	v_add_u16_sdwa v14, v14, v3 dst_sel:DWORD dst_unused:UNUSED_PAD src0_sel:DWORD src1_sel:WORD_1
	v_add_u16_sdwa v14, v14, v3 dst_sel:DWORD dst_unused:UNUSED_PAD src0_sel:DWORD src1_sel:BYTE_3
	v_lshrrev_b32_e32 v11, 8, v4
	v_add_u16_e32 v14, v14, v4
	;; [unrolled: 5-line block ×5, first 2 shown]
	v_add_u16_e32 v14, v14, v8
	v_add_u16_sdwa v14, v14, v7 dst_sel:DWORD dst_unused:UNUSED_PAD src0_sel:DWORD src1_sel:WORD_1
	v_add_u16_sdwa v15, v14, v7 dst_sel:DWORD dst_unused:UNUSED_PAD src0_sel:DWORD src1_sel:BYTE_3
	v_mbcnt_lo_u32_b32 v14, -1, 0
	v_mbcnt_hi_u32_b32 v14, -1, v14
	v_and_b32_e32 v16, 15, v14
	v_and_b32_e32 v17, 0xff, v15
	v_cmp_ne_u32_e32 vcc, 0, v16
	s_nop 0
	v_mov_b32_dpp v17, v17 row_shr:1 row_mask:0xf bank_mask:0xf
	v_cndmask_b32_e32 v17, 0, v17, vcc
	v_add_u16_e32 v15, v17, v15
	v_and_b32_e32 v17, 0xff, v15
	v_cmp_lt_u32_e32 vcc, 1, v16
	s_nop 0
	v_mov_b32_dpp v17, v17 row_shr:2 row_mask:0xf bank_mask:0xf
	v_cndmask_b32_e32 v17, 0, v17, vcc
	v_add_u16_e32 v15, v15, v17
	v_and_b32_e32 v17, 0xff, v15
	v_cmp_lt_u32_e32 vcc, 3, v16
	;; [unrolled: 6-line block ×3, first 2 shown]
	s_nop 0
	v_mov_b32_dpp v17, v17 row_shr:8 row_mask:0xf bank_mask:0xf
	v_cndmask_b32_e32 v16, 0, v17, vcc
	v_add_u16_e32 v15, v15, v16
	v_and_b32_e32 v16, 0xff, v15
	v_and_b32_e32 v17, 16, v14
	v_cmp_ne_u32_e32 vcc, 0, v17
	v_mov_b32_dpp v16, v16 row_bcast:15 row_mask:0xf bank_mask:0xf
	v_lshrrev_b32_e32 v17, 6, v0
	v_cndmask_b32_e32 v16, 0, v16, vcc
	v_add_u16_e32 v15, v15, v16
	v_and_b32_e32 v16, 0xff, v15
	v_cmp_lt_u32_e32 vcc, 31, v14
	s_nop 0
	v_mov_b32_dpp v16, v16 row_bcast:31 row_mask:0xf bank_mask:0xf
	v_cndmask_b32_e32 v16, 0, v16, vcc
	v_add_u16_e32 v16, v15, v16
	v_or_b32_e32 v15, 63, v0
	v_cmp_eq_u32_e32 vcc, v15, v0
	s_and_saveexec_b64 s[52:53], vcc
	s_cbranch_execz .LBB18_50
; %bb.49:
	ds_write_b8 v17, v16
.LBB18_50:
	s_or_b64 exec, exec, s[52:53]
	v_cmp_gt_u32_e32 vcc, 4, v0
	s_waitcnt lgkmcnt(0)
	s_barrier
	s_and_saveexec_b64 s[52:53], vcc
	s_cbranch_execz .LBB18_52
; %bb.51:
	ds_read_u8 v15, v0
	v_and_b32_e32 v18, 3, v14
	v_cmp_ne_u32_e32 vcc, 0, v18
	s_waitcnt lgkmcnt(0)
	v_and_b32_e32 v19, 0xff, v15
	s_nop 1
	v_mov_b32_dpp v19, v19 row_shr:1 row_mask:0xf bank_mask:0xf
	v_cndmask_b32_e32 v19, 0, v19, vcc
	v_add_u16_e32 v15, v19, v15
	v_and_b32_e32 v19, 0xff, v15
	v_cmp_lt_u32_e32 vcc, 1, v18
	s_nop 0
	v_mov_b32_dpp v19, v19 row_shr:2 row_mask:0xf bank_mask:0xf
	v_cndmask_b32_e32 v18, 0, v19, vcc
	v_add_u16_e32 v15, v15, v18
	ds_write_b8 v0, v15
.LBB18_52:
	s_or_b64 exec, exec, s[52:53]
	v_mul_u32_u24_e32 v15, 23, v0
	v_cmp_lt_u32_e32 vcc, 63, v0
	s_waitcnt lgkmcnt(0)
	s_barrier
	s_waitcnt lgkmcnt(0)
                                        ; implicit-def: $vgpr18
	s_and_saveexec_b64 s[52:53], vcc
	s_cbranch_execz .LBB18_54
; %bb.53:
	v_add_u32_e32 v17, -1, v17
	ds_read_u8 v18, v17
	s_waitcnt lgkmcnt(0)
	v_add_u16_e32 v16, v18, v16
.LBB18_54:
	s_or_b64 exec, exec, s[52:53]
	v_add_u32_e32 v17, -1, v14
	v_and_b32_e32 v19, 64, v14
	v_cmp_lt_i32_e32 vcc, v17, v19
	v_and_b32_e32 v16, 0xff, v16
	v_add_u32_e32 v15, v0, v15
	v_cndmask_b32_e32 v17, v17, v14, vcc
	v_lshlrev_b32_e32 v17, 2, v17
	ds_bpermute_b32 v16, v17, v16
	v_cmp_eq_u32_e32 vcc, 0, v14
	s_waitcnt lgkmcnt(0)
	s_barrier
	v_cndmask_b32_e32 v14, v16, v18, vcc
	v_cmp_ne_u32_e32 vcc, 0, v0
	s_load_dwordx2 s[0:1], s[0:1], 0x18
	s_nop 0
	v_cndmask_b32_e32 v14, 0, v14, vcc
	v_add_u16_e32 v14, v14, v2
	v_add_u16_e32 v13, v14, v13
	v_add_u16_sdwa v16, v13, v2 dst_sel:DWORD dst_unused:UNUSED_PAD src0_sel:DWORD src1_sel:WORD_1
	v_add_u16_sdwa v2, v16, v2 dst_sel:DWORD dst_unused:UNUSED_PAD src0_sel:DWORD src1_sel:BYTE_3
	v_add_u16_e32 v17, v2, v3
	v_add_u16_e32 v12, v17, v12
	v_add_u16_sdwa v18, v12, v3 dst_sel:DWORD dst_unused:UNUSED_PAD src0_sel:DWORD src1_sel:WORD_1
	v_add_u16_sdwa v3, v18, v3 dst_sel:DWORD dst_unused:UNUSED_PAD src0_sel:DWORD src1_sel:BYTE_3
	;; [unrolled: 4-line block ×5, first 2 shown]
	v_lshlrev_b16_e32 v13, 8, v13
	v_lshlrev_b16_e32 v2, 8, v2
	;; [unrolled: 1-line block ×8, first 2 shown]
	v_add_u16_e32 v25, v6, v7
	v_or_b32_sdwa v13, v14, v13 dst_sel:DWORD dst_unused:UNUSED_PAD src0_sel:BYTE_0 src1_sel:DWORD
	v_or_b32_sdwa v2, v16, v2 dst_sel:WORD_1 dst_unused:UNUSED_PAD src0_sel:BYTE_0 src1_sel:DWORD
	v_or_b32_sdwa v12, v17, v12 dst_sel:DWORD dst_unused:UNUSED_PAD src0_sel:BYTE_0 src1_sel:DWORD
	v_or_b32_sdwa v3, v18, v3 dst_sel:WORD_1 dst_unused:UNUSED_PAD src0_sel:BYTE_0 src1_sel:DWORD
	v_or_b32_sdwa v11, v19, v11 dst_sel:DWORD dst_unused:UNUSED_PAD src0_sel:BYTE_0 src1_sel:DWORD
	v_or_b32_sdwa v4, v20, v4 dst_sel:WORD_1 dst_unused:UNUSED_PAD src0_sel:BYTE_0 src1_sel:DWORD
	v_or_b32_sdwa v10, v21, v10 dst_sel:DWORD dst_unused:UNUSED_PAD src0_sel:BYTE_0 src1_sel:DWORD
	v_or_b32_sdwa v5, v22, v5 dst_sel:WORD_1 dst_unused:UNUSED_PAD src0_sel:BYTE_0 src1_sel:DWORD
	v_add_u16_e32 v8, v25, v8
	v_or_b32_sdwa v2, v13, v2 dst_sel:DWORD dst_unused:UNUSED_PAD src0_sel:WORD_0 src1_sel:DWORD
	v_or_b32_sdwa v3, v12, v3 dst_sel:DWORD dst_unused:UNUSED_PAD src0_sel:WORD_0 src1_sel:DWORD
	v_or_b32_sdwa v4, v11, v4 dst_sel:DWORD dst_unused:UNUSED_PAD src0_sel:WORD_0 src1_sel:DWORD
	v_or_b32_sdwa v5, v10, v5 dst_sel:DWORD dst_unused:UNUSED_PAD src0_sel:WORD_0 src1_sel:DWORD
	v_add_u16_sdwa v26, v8, v7 dst_sel:DWORD dst_unused:UNUSED_PAD src0_sel:DWORD src1_sel:WORD_1
	ds_write2_b64 v15, v[2:3], v[4:5] offset1:1
	v_lshlrev_b16_e32 v2, 8, v9
	v_lshlrev_b16_e32 v3, 8, v6
	v_add_u16_sdwa v7, v26, v7 dst_sel:DWORD dst_unused:UNUSED_PAD src0_sel:DWORD src1_sel:BYTE_3
	v_or_b32_sdwa v2, v23, v2 dst_sel:DWORD dst_unused:UNUSED_PAD src0_sel:BYTE_0 src1_sel:DWORD
	v_or_b32_sdwa v3, v24, v3 dst_sel:WORD_1 dst_unused:UNUSED_PAD src0_sel:BYTE_0 src1_sel:DWORD
	v_lshlrev_b16_e32 v4, 8, v7
	v_or_b32_sdwa v2, v2, v3 dst_sel:DWORD dst_unused:UNUSED_PAD src0_sel:WORD_0 src1_sel:DWORD
	v_lshlrev_b16_e32 v3, 8, v8
	v_or_b32_sdwa v3, v25, v3 dst_sel:DWORD dst_unused:UNUSED_PAD src0_sel:BYTE_0 src1_sel:DWORD
	v_or_b32_sdwa v4, v26, v4 dst_sel:WORD_1 dst_unused:UNUSED_PAD src0_sel:BYTE_0 src1_sel:DWORD
	s_nop 0
	v_or_b32_sdwa v3, v3, v4 dst_sel:DWORD dst_unused:UNUSED_PAD src0_sel:WORD_0 src1_sel:DWORD
	ds_write_b64 v15, v[2:3] offset:16
	s_waitcnt lgkmcnt(0)
	s_barrier
	ds_read_u8 v26, v0 offset:256
	ds_read_u8 v25, v0 offset:512
	;; [unrolled: 1-line block ×23, first 2 shown]
	v_lshl_add_u64 v[2:3], s[0:1], 0, v[0:1]
	s_and_saveexec_b64 s[0:1], s[38:39]
	s_cbranch_execnz .LBB18_79
; %bb.55:
	s_or_b64 exec, exec, s[0:1]
	s_and_saveexec_b64 s[0:1], s[2:3]
	s_cbranch_execnz .LBB18_80
.LBB18_56:
	s_or_b64 exec, exec, s[0:1]
	s_and_saveexec_b64 s[0:1], s[4:5]
	s_cbranch_execnz .LBB18_81
.LBB18_57:
	s_or_b64 exec, exec, s[0:1]
	s_and_saveexec_b64 s[0:1], s[6:7]
	s_cbranch_execnz .LBB18_82
.LBB18_58:
	s_or_b64 exec, exec, s[0:1]
	s_and_saveexec_b64 s[0:1], s[8:9]
	s_cbranch_execnz .LBB18_83
.LBB18_59:
	s_or_b64 exec, exec, s[0:1]
	s_and_saveexec_b64 s[0:1], s[10:11]
	s_cbranch_execnz .LBB18_84
.LBB18_60:
	s_or_b64 exec, exec, s[0:1]
	s_and_saveexec_b64 s[0:1], s[12:13]
	s_cbranch_execnz .LBB18_85
.LBB18_61:
	s_or_b64 exec, exec, s[0:1]
	s_and_saveexec_b64 s[0:1], s[14:15]
	s_cbranch_execnz .LBB18_86
.LBB18_62:
	s_or_b64 exec, exec, s[0:1]
	s_and_saveexec_b64 s[0:1], s[16:17]
	s_cbranch_execnz .LBB18_87
.LBB18_63:
	s_or_b64 exec, exec, s[0:1]
	s_and_saveexec_b64 s[0:1], s[18:19]
	s_cbranch_execnz .LBB18_88
.LBB18_64:
	s_or_b64 exec, exec, s[0:1]
	s_and_saveexec_b64 s[0:1], s[20:21]
	s_cbranch_execnz .LBB18_89
.LBB18_65:
	s_or_b64 exec, exec, s[0:1]
	s_and_saveexec_b64 s[0:1], s[22:23]
	s_cbranch_execnz .LBB18_90
.LBB18_66:
	s_or_b64 exec, exec, s[0:1]
	s_and_saveexec_b64 s[0:1], s[24:25]
	s_cbranch_execnz .LBB18_91
.LBB18_67:
	s_or_b64 exec, exec, s[0:1]
	s_and_saveexec_b64 s[0:1], s[26:27]
	s_cbranch_execnz .LBB18_92
.LBB18_68:
	s_or_b64 exec, exec, s[0:1]
	s_and_saveexec_b64 s[0:1], s[28:29]
	s_cbranch_execnz .LBB18_93
.LBB18_69:
	s_or_b64 exec, exec, s[0:1]
	s_and_saveexec_b64 s[0:1], s[30:31]
	s_cbranch_execnz .LBB18_94
.LBB18_70:
	s_or_b64 exec, exec, s[0:1]
	s_and_saveexec_b64 s[0:1], s[34:35]
	s_cbranch_execnz .LBB18_95
.LBB18_71:
	s_or_b64 exec, exec, s[0:1]
	s_and_saveexec_b64 s[0:1], s[36:37]
	s_cbranch_execnz .LBB18_96
.LBB18_72:
	s_or_b64 exec, exec, s[0:1]
	s_and_saveexec_b64 s[0:1], s[40:41]
	s_cbranch_execnz .LBB18_97
.LBB18_73:
	s_or_b64 exec, exec, s[0:1]
	s_and_saveexec_b64 s[0:1], s[42:43]
	s_cbranch_execnz .LBB18_98
.LBB18_74:
	s_or_b64 exec, exec, s[0:1]
	s_and_saveexec_b64 s[0:1], s[44:45]
	s_cbranch_execnz .LBB18_99
.LBB18_75:
	s_or_b64 exec, exec, s[0:1]
	s_and_saveexec_b64 s[0:1], s[46:47]
	s_cbranch_execnz .LBB18_100
.LBB18_76:
	s_or_b64 exec, exec, s[0:1]
	s_and_saveexec_b64 s[0:1], s[48:49]
	s_cbranch_execnz .LBB18_101
.LBB18_77:
	s_or_b64 exec, exec, s[0:1]
	s_and_saveexec_b64 s[0:1], s[50:51]
	s_cbranch_execnz .LBB18_102
.LBB18_78:
	s_endpgm
.LBB18_79:
	ds_read_u8 v0, v0
	s_waitcnt lgkmcnt(0)
	global_store_byte v[2:3], v0, off
	s_or_b64 exec, exec, s[0:1]
	s_and_saveexec_b64 s[0:1], s[2:3]
	s_cbranch_execz .LBB18_56
.LBB18_80:
	s_waitcnt lgkmcnt(14)
	global_store_byte v[2:3], v26, off offset:256
	s_or_b64 exec, exec, s[0:1]
	s_and_saveexec_b64 s[0:1], s[4:5]
	s_cbranch_execz .LBB18_57
.LBB18_81:
	s_waitcnt lgkmcnt(14)
	global_store_byte v[2:3], v25, off offset:512
	s_or_b64 exec, exec, s[0:1]
	s_and_saveexec_b64 s[0:1], s[6:7]
	s_cbranch_execz .LBB18_58
.LBB18_82:
	s_waitcnt lgkmcnt(14)
	global_store_byte v[2:3], v24, off offset:768
	s_or_b64 exec, exec, s[0:1]
	s_and_saveexec_b64 s[0:1], s[8:9]
	s_cbranch_execz .LBB18_59
.LBB18_83:
	s_waitcnt lgkmcnt(14)
	global_store_byte v[2:3], v23, off offset:1024
	s_or_b64 exec, exec, s[0:1]
	s_and_saveexec_b64 s[0:1], s[10:11]
	s_cbranch_execz .LBB18_60
.LBB18_84:
	s_waitcnt lgkmcnt(14)
	global_store_byte v[2:3], v22, off offset:1280
	s_or_b64 exec, exec, s[0:1]
	s_and_saveexec_b64 s[0:1], s[12:13]
	s_cbranch_execz .LBB18_61
.LBB18_85:
	s_waitcnt lgkmcnt(14)
	global_store_byte v[2:3], v21, off offset:1536
	s_or_b64 exec, exec, s[0:1]
	s_and_saveexec_b64 s[0:1], s[14:15]
	s_cbranch_execz .LBB18_62
.LBB18_86:
	s_waitcnt lgkmcnt(14)
	global_store_byte v[2:3], v20, off offset:1792
	s_or_b64 exec, exec, s[0:1]
	s_and_saveexec_b64 s[0:1], s[16:17]
	s_cbranch_execz .LBB18_63
.LBB18_87:
	s_waitcnt lgkmcnt(14)
	global_store_byte v[2:3], v19, off offset:2048
	s_or_b64 exec, exec, s[0:1]
	s_and_saveexec_b64 s[0:1], s[18:19]
	s_cbranch_execz .LBB18_64
.LBB18_88:
	s_waitcnt lgkmcnt(14)
	global_store_byte v[2:3], v18, off offset:2304
	s_or_b64 exec, exec, s[0:1]
	s_and_saveexec_b64 s[0:1], s[20:21]
	s_cbranch_execz .LBB18_65
.LBB18_89:
	s_waitcnt lgkmcnt(13)
	global_store_byte v[2:3], v17, off offset:2560
	s_or_b64 exec, exec, s[0:1]
	s_and_saveexec_b64 s[0:1], s[22:23]
	s_cbranch_execz .LBB18_66
.LBB18_90:
	s_waitcnt lgkmcnt(12)
	global_store_byte v[2:3], v16, off offset:2816
	s_or_b64 exec, exec, s[0:1]
	s_and_saveexec_b64 s[0:1], s[24:25]
	s_cbranch_execz .LBB18_67
.LBB18_91:
	s_waitcnt lgkmcnt(11)
	global_store_byte v[2:3], v15, off offset:3072
	s_or_b64 exec, exec, s[0:1]
	s_and_saveexec_b64 s[0:1], s[26:27]
	s_cbranch_execz .LBB18_68
.LBB18_92:
	s_waitcnt lgkmcnt(10)
	global_store_byte v[2:3], v14, off offset:3328
	s_or_b64 exec, exec, s[0:1]
	s_and_saveexec_b64 s[0:1], s[28:29]
	s_cbranch_execz .LBB18_69
.LBB18_93:
	s_waitcnt lgkmcnt(9)
	global_store_byte v[2:3], v13, off offset:3584
	s_or_b64 exec, exec, s[0:1]
	s_and_saveexec_b64 s[0:1], s[30:31]
	s_cbranch_execz .LBB18_70
.LBB18_94:
	s_waitcnt lgkmcnt(8)
	global_store_byte v[2:3], v12, off offset:3840
	s_or_b64 exec, exec, s[0:1]
	s_and_saveexec_b64 s[0:1], s[34:35]
	s_cbranch_execz .LBB18_71
.LBB18_95:
	v_add_co_u32_e32 v0, vcc, 0x1000, v2
	s_nop 1
	v_addc_co_u32_e32 v1, vcc, 0, v3, vcc
	s_waitcnt lgkmcnt(7)
	global_store_byte v[0:1], v11, off
	s_or_b64 exec, exec, s[0:1]
	s_and_saveexec_b64 s[0:1], s[36:37]
	s_cbranch_execz .LBB18_72
.LBB18_96:
	v_add_co_u32_e32 v0, vcc, 0x1000, v2
	s_nop 1
	v_addc_co_u32_e32 v1, vcc, 0, v3, vcc
	s_waitcnt lgkmcnt(6)
	global_store_byte v[0:1], v10, off offset:256
	s_or_b64 exec, exec, s[0:1]
	s_and_saveexec_b64 s[0:1], s[40:41]
	s_cbranch_execz .LBB18_73
.LBB18_97:
	v_add_co_u32_e32 v0, vcc, 0x1000, v2
	s_nop 1
	v_addc_co_u32_e32 v1, vcc, 0, v3, vcc
	s_waitcnt lgkmcnt(5)
	global_store_byte v[0:1], v9, off offset:512
	s_or_b64 exec, exec, s[0:1]
	s_and_saveexec_b64 s[0:1], s[42:43]
	s_cbranch_execz .LBB18_74
.LBB18_98:
	v_add_co_u32_e32 v0, vcc, 0x1000, v2
	s_nop 1
	v_addc_co_u32_e32 v1, vcc, 0, v3, vcc
	s_waitcnt lgkmcnt(4)
	global_store_byte v[0:1], v8, off offset:768
	s_or_b64 exec, exec, s[0:1]
	s_and_saveexec_b64 s[0:1], s[44:45]
	s_cbranch_execz .LBB18_75
.LBB18_99:
	v_add_co_u32_e32 v0, vcc, 0x1000, v2
	s_nop 1
	v_addc_co_u32_e32 v1, vcc, 0, v3, vcc
	s_waitcnt lgkmcnt(3)
	global_store_byte v[0:1], v7, off offset:1024
	s_or_b64 exec, exec, s[0:1]
	s_and_saveexec_b64 s[0:1], s[46:47]
	s_cbranch_execz .LBB18_76
.LBB18_100:
	v_add_co_u32_e32 v0, vcc, 0x1000, v2
	s_nop 1
	v_addc_co_u32_e32 v1, vcc, 0, v3, vcc
	s_waitcnt lgkmcnt(2)
	global_store_byte v[0:1], v6, off offset:1280
	s_or_b64 exec, exec, s[0:1]
	s_and_saveexec_b64 s[0:1], s[48:49]
	s_cbranch_execz .LBB18_77
.LBB18_101:
	v_add_co_u32_e32 v0, vcc, 0x1000, v2
	s_nop 1
	v_addc_co_u32_e32 v1, vcc, 0, v3, vcc
	s_waitcnt lgkmcnt(1)
	global_store_byte v[0:1], v5, off offset:1536
	s_or_b64 exec, exec, s[0:1]
	s_and_saveexec_b64 s[0:1], s[50:51]
	s_cbranch_execz .LBB18_78
.LBB18_102:
	v_add_co_u32_e32 v0, vcc, 0x1000, v2
	s_nop 1
	v_addc_co_u32_e32 v1, vcc, 0, v3, vcc
	s_waitcnt lgkmcnt(0)
	global_store_byte v[0:1], v4, off offset:1792
	s_endpgm
	.section	.rodata,"a",@progbits
	.p2align	6, 0x0
	.amdhsa_kernel _ZN7rocprim17ROCPRIM_304000_NS6detail18single_scan_kernelILb0ENS1_19wrapped_scan_configINS0_14default_configEaEEPKaPaSt4plusIaEaaEEvT1_mT4_T2_T3_
		.amdhsa_group_segment_fixed_size 6144
		.amdhsa_private_segment_fixed_size 0
		.amdhsa_kernarg_size 36
		.amdhsa_user_sgpr_count 2
		.amdhsa_user_sgpr_dispatch_ptr 0
		.amdhsa_user_sgpr_queue_ptr 0
		.amdhsa_user_sgpr_kernarg_segment_ptr 1
		.amdhsa_user_sgpr_dispatch_id 0
		.amdhsa_user_sgpr_kernarg_preload_length 0
		.amdhsa_user_sgpr_kernarg_preload_offset 0
		.amdhsa_user_sgpr_private_segment_size 0
		.amdhsa_uses_dynamic_stack 0
		.amdhsa_enable_private_segment 0
		.amdhsa_system_sgpr_workgroup_id_x 1
		.amdhsa_system_sgpr_workgroup_id_y 0
		.amdhsa_system_sgpr_workgroup_id_z 0
		.amdhsa_system_sgpr_workgroup_info 0
		.amdhsa_system_vgpr_workitem_id 0
		.amdhsa_next_free_vgpr 30
		.amdhsa_next_free_sgpr 54
		.amdhsa_accum_offset 32
		.amdhsa_reserve_vcc 1
		.amdhsa_float_round_mode_32 0
		.amdhsa_float_round_mode_16_64 0
		.amdhsa_float_denorm_mode_32 3
		.amdhsa_float_denorm_mode_16_64 3
		.amdhsa_dx10_clamp 1
		.amdhsa_ieee_mode 1
		.amdhsa_fp16_overflow 0
		.amdhsa_tg_split 0
		.amdhsa_exception_fp_ieee_invalid_op 0
		.amdhsa_exception_fp_denorm_src 0
		.amdhsa_exception_fp_ieee_div_zero 0
		.amdhsa_exception_fp_ieee_overflow 0
		.amdhsa_exception_fp_ieee_underflow 0
		.amdhsa_exception_fp_ieee_inexact 0
		.amdhsa_exception_int_div_zero 0
	.end_amdhsa_kernel
	.section	.text._ZN7rocprim17ROCPRIM_304000_NS6detail18single_scan_kernelILb0ENS1_19wrapped_scan_configINS0_14default_configEaEEPKaPaSt4plusIaEaaEEvT1_mT4_T2_T3_,"axG",@progbits,_ZN7rocprim17ROCPRIM_304000_NS6detail18single_scan_kernelILb0ENS1_19wrapped_scan_configINS0_14default_configEaEEPKaPaSt4plusIaEaaEEvT1_mT4_T2_T3_,comdat
.Lfunc_end18:
	.size	_ZN7rocprim17ROCPRIM_304000_NS6detail18single_scan_kernelILb0ENS1_19wrapped_scan_configINS0_14default_configEaEEPKaPaSt4plusIaEaaEEvT1_mT4_T2_T3_, .Lfunc_end18-_ZN7rocprim17ROCPRIM_304000_NS6detail18single_scan_kernelILb0ENS1_19wrapped_scan_configINS0_14default_configEaEEPKaPaSt4plusIaEaaEEvT1_mT4_T2_T3_
                                        ; -- End function
	.section	.AMDGPU.csdata,"",@progbits
; Kernel info:
; codeLenInByte = 3544
; NumSgprs: 60
; NumVgprs: 30
; NumAgprs: 0
; TotalNumVgprs: 30
; ScratchSize: 0
; MemoryBound: 0
; FloatMode: 240
; IeeeMode: 1
; LDSByteSize: 6144 bytes/workgroup (compile time only)
; SGPRBlocks: 7
; VGPRBlocks: 3
; NumSGPRsForWavesPerEU: 60
; NumVGPRsForWavesPerEU: 30
; AccumOffset: 32
; Occupancy: 8
; WaveLimiterHint : 0
; COMPUTE_PGM_RSRC2:SCRATCH_EN: 0
; COMPUTE_PGM_RSRC2:USER_SGPR: 2
; COMPUTE_PGM_RSRC2:TRAP_HANDLER: 0
; COMPUTE_PGM_RSRC2:TGID_X_EN: 1
; COMPUTE_PGM_RSRC2:TGID_Y_EN: 0
; COMPUTE_PGM_RSRC2:TGID_Z_EN: 0
; COMPUTE_PGM_RSRC2:TIDIG_COMP_CNT: 0
; COMPUTE_PGM_RSRC3_GFX90A:ACCUM_OFFSET: 7
; COMPUTE_PGM_RSRC3_GFX90A:TG_SPLIT: 0
	.section	.text._ZN2at6native32tensor_kernel_scan_innermost_dimIaSt4plusIaEEEvPT_PKS4_jjjS4_T0_,"axG",@progbits,_ZN2at6native32tensor_kernel_scan_innermost_dimIaSt4plusIaEEEvPT_PKS4_jjjS4_T0_,comdat
	.protected	_ZN2at6native32tensor_kernel_scan_innermost_dimIaSt4plusIaEEEvPT_PKS4_jjjS4_T0_ ; -- Begin function _ZN2at6native32tensor_kernel_scan_innermost_dimIaSt4plusIaEEEvPT_PKS4_jjjS4_T0_
	.globl	_ZN2at6native32tensor_kernel_scan_innermost_dimIaSt4plusIaEEEvPT_PKS4_jjjS4_T0_
	.p2align	8
	.type	_ZN2at6native32tensor_kernel_scan_innermost_dimIaSt4plusIaEEEvPT_PKS4_jjjS4_T0_,@function
_ZN2at6native32tensor_kernel_scan_innermost_dimIaSt4plusIaEEEvPT_PKS4_jjjS4_T0_: ; @_ZN2at6native32tensor_kernel_scan_innermost_dimIaSt4plusIaEEEvPT_PKS4_jjjS4_T0_
; %bb.0:
	s_load_dwordx8 s[12:19], s[0:1], 0x0
	v_bfe_u32 v2, v0, 10, 10
	s_waitcnt lgkmcnt(0)
	s_lshl_b32 s3, 2, s18
	v_mul_lo_u32 v1, s3, v2
	s_mul_hi_u32 s4, s16, s17
	s_mov_b32 s20, s16
	v_add_u32_e32 v20, 0, v1
	s_cmp_lg_u32 s4, 0
	s_mov_b64 s[4:5], -1
	s_cbranch_scc1 .LBB19_26
; %bb.1:
	s_load_dword s6, s[0:1], 0x2c
	s_add_u32 s4, s0, 32
	s_addc_u32 s5, s1, 0
	s_waitcnt lgkmcnt(0)
	s_lshr_b32 s6, s6, 16
	s_mul_i32 s21, s2, s6
	s_cmp_ge_u32 s21, s16
	s_cbranch_scc1 .LBB19_25
; %bb.2:
	s_load_dword s26, s[4:5], 0x0
	s_cmp_lg_u32 s17, 0
	v_and_b32_e32 v1, 0x3ff, v0
	s_cselect_b64 s[4:5], -1, 0
	v_lshl_add_u32 v3, 1, s18, v1
	v_add_u32_e32 v12, -1, v20
	v_cndmask_b32_e64 v4, 0, 1, s[4:5]
	v_cmp_eq_u32_e64 s[8:9], 0, v1
	v_add_u32_e32 v13, s3, v12
	s_waitcnt lgkmcnt(0)
	s_mul_i32 s26, s26, s6
	s_add_i32 s27, s18, 1
	v_cmp_ne_u32_e64 s[4:5], 1, v4
	v_mov_b32_e32 v5, 0
	v_add_u32_e32 v14, v20, v1
	v_add_u32_e32 v15, v20, v3
	s_branch .LBB19_4
.LBB19_3:                               ;   in Loop: Header=BB19_4 Depth=1
	s_add_i32 s21, s21, s26
	s_cmp_ge_u32 s21, s16
	s_cbranch_scc1 .LBB19_25
.LBB19_4:                               ; =>This Loop Header: Depth=1
                                        ;     Child Loop BB19_7 Depth 2
                                        ;       Child Loop BB19_16 Depth 3
	s_and_b64 vcc, exec, s[4:5]
	s_cbranch_vccnz .LBB19_3
; %bb.5:                                ;   in Loop: Header=BB19_4 Depth=1
	v_add_u32_e32 v10, s21, v2
	v_mul_lo_u32 v4, v10, s17
	v_lshl_add_u64 v[6:7], s[14:15], 0, v[4:5]
	v_lshl_add_u64 v[8:9], s[12:13], 0, v[4:5]
	v_cmp_gt_u32_e32 vcc, s16, v10
	v_cmp_le_u32_e64 s[6:7], s16, v10
	s_mov_b32 s28, 0
	v_mov_b32_e32 v16, s19
	s_branch .LBB19_7
.LBB19_6:                               ;   in Loop: Header=BB19_7 Depth=2
	s_or_b64 exec, exec, s[22:23]
	ds_read_u8 v16, v13
	s_add_i32 s28, s28, s3
	s_cmp_ge_u32 s28, s17
	s_waitcnt lgkmcnt(0)
	s_barrier
	s_cbranch_scc1 .LBB19_3
.LBB19_7:                               ;   Parent Loop BB19_4 Depth=1
                                        ; =>  This Loop Header: Depth=2
                                        ;       Child Loop BB19_16 Depth 3
	v_add_u32_e32 v4, s28, v1
	v_add_u32_e32 v10, s28, v3
	s_and_saveexec_b64 s[22:23], vcc
	s_cbranch_execz .LBB19_14
; %bb.8:                                ;   in Loop: Header=BB19_7 Depth=2
	v_cmp_gt_u32_e64 s[10:11], s17, v4
	v_mov_b32_e32 v11, s19
	s_and_saveexec_b64 s[24:25], s[10:11]
	s_cbranch_execz .LBB19_10
; %bb.9:                                ;   in Loop: Header=BB19_7 Depth=2
	v_lshl_add_u64 v[18:19], v[6:7], 0, v[4:5]
	global_load_ubyte v11, v[18:19], off
.LBB19_10:                              ;   in Loop: Header=BB19_7 Depth=2
	s_or_b64 exec, exec, s[24:25]
	s_waitcnt vmcnt(0)
	ds_write_b8 v14, v11
	v_cmp_gt_u32_e64 s[10:11], s17, v10
	v_mov_b32_e32 v11, s19
	s_and_saveexec_b64 s[24:25], s[10:11]
	s_cbranch_execz .LBB19_12
; %bb.11:                               ;   in Loop: Header=BB19_7 Depth=2
	v_mov_b32_e32 v11, v5
	v_lshl_add_u64 v[18:19], v[6:7], 0, v[10:11]
	global_load_ubyte v11, v[18:19], off
.LBB19_12:                              ;   in Loop: Header=BB19_7 Depth=2
	s_or_b64 exec, exec, s[24:25]
	s_waitcnt vmcnt(0)
	ds_write_b8 v15, v11
	s_and_b64 exec, exec, s[8:9]
	s_cbranch_execz .LBB19_14
; %bb.13:                               ;   in Loop: Header=BB19_7 Depth=2
	ds_read_u8 v11, v20
	s_waitcnt lgkmcnt(0)
	v_add_u16_e32 v11, v11, v16
	ds_write_b8 v20, v11
.LBB19_14:                              ;   in Loop: Header=BB19_7 Depth=2
	s_or_b64 exec, exec, s[22:23]
	s_mov_b64 s[22:23], 0
	v_mov_b32_e32 v11, 0
	s_waitcnt lgkmcnt(0)
	s_barrier
	s_branch .LBB19_16
.LBB19_15:                              ;   in Loop: Header=BB19_16 Depth=3
	s_or_b64 exec, exec, s[10:11]
	v_cmp_eq_u32_e64 s[10:11], s27, v11
	s_or_b64 s[22:23], s[10:11], s[22:23]
	s_waitcnt lgkmcnt(0)
	s_barrier
	s_andn2_b64 exec, exec, s[22:23]
	s_cbranch_execz .LBB19_20
.LBB19_16:                              ;   Parent Loop BB19_4 Depth=1
                                        ;     Parent Loop BB19_7 Depth=2
                                        ; =>    This Inner Loop Header: Depth=3
	v_add_u32_e32 v16, 1, v11
	s_and_saveexec_b64 s[10:11], s[6:7]
	s_xor_b64 s[10:11], exec, s[10:11]
; %bb.17:                               ;   in Loop: Header=BB19_16 Depth=3
	v_add_u32_e32 v11, 1, v11
                                        ; implicit-def: $vgpr16
; %bb.18:                               ;   in Loop: Header=BB19_16 Depth=3
	s_andn2_saveexec_b64 s[10:11], s[10:11]
	s_cbranch_execz .LBB19_15
; %bb.19:                               ;   in Loop: Header=BB19_16 Depth=3
	v_lshlrev_b32_e64 v17, v11, 1
	v_lshrrev_b32_e32 v18, v11, v1
	v_bfm_b32 v11, v11, 0
	v_lshl_or_b32 v17, v18, v16, v17
	v_and_b32_e32 v11, v11, v1
	v_add3_u32 v11, v20, v17, v11
	v_add_u32_e32 v17, v12, v17
	ds_read_u8 v18, v11
	ds_read_u8 v17, v17
	s_waitcnt lgkmcnt(0)
	v_add_u16_e32 v17, v17, v18
	ds_write_b8 v11, v17
	v_mov_b32_e32 v11, v16
	s_branch .LBB19_15
.LBB19_20:                              ;   in Loop: Header=BB19_7 Depth=2
	s_or_b64 exec, exec, s[22:23]
	s_and_saveexec_b64 s[22:23], vcc
	s_cbranch_execz .LBB19_6
; %bb.21:                               ;   in Loop: Header=BB19_7 Depth=2
	v_cmp_gt_u32_e64 s[10:11], s17, v4
	s_and_saveexec_b64 s[24:25], s[10:11]
	s_cbranch_execz .LBB19_23
; %bb.22:                               ;   in Loop: Header=BB19_7 Depth=2
	ds_read_u8 v11, v14
	v_lshl_add_u64 v[16:17], v[8:9], 0, v[4:5]
	s_waitcnt lgkmcnt(0)
	global_store_byte v[16:17], v11, off
.LBB19_23:                              ;   in Loop: Header=BB19_7 Depth=2
	s_or_b64 exec, exec, s[24:25]
	v_cmp_gt_u32_e64 s[10:11], s17, v10
	s_and_b64 exec, exec, s[10:11]
	s_cbranch_execz .LBB19_6
; %bb.24:                               ;   in Loop: Header=BB19_7 Depth=2
	ds_read_u8 v4, v15
	v_mov_b32_e32 v11, v5
	v_lshl_add_u64 v[10:11], v[8:9], 0, v[10:11]
	s_waitcnt lgkmcnt(0)
	global_store_byte v[10:11], v4, off
	s_branch .LBB19_6
.LBB19_25:
	s_mov_b64 s[4:5], 0
.LBB19_26:
	s_andn2_b64 vcc, exec, s[4:5]
	s_cbranch_vccnz .LBB19_53
; %bb.27:
	s_load_dword s3, s[0:1], 0x2c
	s_add_u32 s0, s0, 32
	s_mov_b32 s21, 0
	s_addc_u32 s1, s1, 0
	v_mov_b64_e32 v[4:5], s[20:21]
	s_waitcnt lgkmcnt(0)
	s_lshr_b32 s3, s3, 16
	s_mul_hi_u32 s9, s3, s2
	s_mul_i32 s8, s3, s2
	v_cmp_ge_u64_e32 vcc, s[8:9], v[4:5]
	s_cbranch_vccnz .LBB19_53
; %bb.28:
	s_lshl_b32 s10, 1, s18
	s_load_dword s5, s[0:1], 0x0
	s_and_b32 s4, 0xffff, s3
	s_ashr_i32 s11, s10, 31
	s_cmp_lg_u32 s17, 0
	s_cselect_b64 s[2:3], -1, 0
	v_mov_b32_e32 v3, 0
	s_mov_b32 s22, s17
	s_mov_b32 s23, s21
	v_add_u32_e32 v4, -1, v20
	v_and_b32_e32 v0, 0x3ff, v0
	v_add_u32_e32 v6, s10, v20
	s_lshl_b64 s[16:17], s[10:11], 1
	v_cndmask_b32_e64 v5, 0, 1, s[2:3]
	v_mov_b32_e32 v1, v3
	v_cmp_eq_u32_e64 s[0:1], 0, v0
	s_waitcnt lgkmcnt(0)
	s_mul_i32 s33, s5, s4
	s_add_i32 s18, s18, 1
	v_cmp_ne_u32_e64 s[2:3], 1, v5
	v_add_u32_e32 v21, s16, v4
	v_mov_b64_e32 v[4:5], s[20:21]
	v_add_u32_e32 v22, v20, v0
	v_add_u32_e32 v23, v6, v0
	v_mov_b64_e32 v[6:7], s[22:23]
	s_branch .LBB19_30
.LBB19_29:                              ;   in Loop: Header=BB19_30 Depth=1
	s_add_u32 s8, s8, s33
	s_addc_u32 s9, s9, 0
	v_cmp_ge_u64_e32 vcc, s[8:9], v[4:5]
	s_cbranch_vccnz .LBB19_53
.LBB19_30:                              ; =>This Loop Header: Depth=1
                                        ;     Child Loop BB19_33 Depth 2
                                        ;       Child Loop BB19_43 Depth 3
	s_and_b64 vcc, exec, s[2:3]
	s_cbranch_vccnz .LBB19_29
; %bb.31:                               ;   in Loop: Header=BB19_30 Depth=1
	v_lshl_add_u64 v[12:13], s[8:9], 0, v[2:3]
	v_mov_b64_e32 v[8:9], s[14:15]
	v_mov_b64_e32 v[10:11], s[12:13]
	v_mad_u64_u32 v[8:9], s[4:5], v12, s22, v[8:9]
	v_mul_lo_u32 v14, v13, s22
	v_mad_u64_u32 v[10:11], s[4:5], v12, s22, v[10:11]
	v_add_u32_e32 v9, v14, v9
	v_add_u32_e32 v11, v14, v11
	v_cmp_gt_u64_e64 s[4:5], s[20:21], v[12:13]
	v_cmp_le_u64_e64 s[6:7], s[20:21], v[12:13]
	s_mov_b64 s[24:25], 0
	v_mov_b32_e32 v16, s19
	s_branch .LBB19_33
.LBB19_32:                              ;   in Loop: Header=BB19_33 Depth=2
	s_or_b64 exec, exec, s[26:27]
	ds_read_u8 v16, v21
	s_add_u32 s24, s24, s16
	s_addc_u32 s25, s25, s17
	v_cmp_ge_u64_e32 vcc, s[24:25], v[6:7]
	s_waitcnt lgkmcnt(0)
	s_barrier
	s_cbranch_vccnz .LBB19_29
.LBB19_33:                              ;   Parent Loop BB19_30 Depth=1
                                        ; =>  This Loop Header: Depth=2
                                        ;       Child Loop BB19_43 Depth 3
	v_lshl_add_u64 v[14:15], s[24:25], 0, v[0:1]
	v_lshl_add_u64 v[12:13], v[14:15], 0, s[10:11]
	s_and_saveexec_b64 s[26:27], s[4:5]
	s_cbranch_execz .LBB19_40
; %bb.34:                               ;   in Loop: Header=BB19_33 Depth=2
	v_cmp_gt_u64_e32 vcc, s[22:23], v[14:15]
	v_mov_b32_e32 v17, s19
	s_and_saveexec_b64 s[28:29], vcc
	s_cbranch_execz .LBB19_36
; %bb.35:                               ;   in Loop: Header=BB19_33 Depth=2
	v_lshl_add_u64 v[18:19], v[8:9], 0, v[14:15]
	global_load_ubyte v17, v[18:19], off
.LBB19_36:                              ;   in Loop: Header=BB19_33 Depth=2
	s_or_b64 exec, exec, s[28:29]
	s_waitcnt vmcnt(0)
	ds_write_b8 v22, v17
	v_cmp_gt_u64_e32 vcc, s[22:23], v[12:13]
	v_mov_b32_e32 v17, s19
	s_and_saveexec_b64 s[28:29], vcc
	s_cbranch_execz .LBB19_38
; %bb.37:                               ;   in Loop: Header=BB19_33 Depth=2
	v_lshl_add_u64 v[18:19], v[8:9], 0, v[12:13]
	global_load_ubyte v17, v[18:19], off
.LBB19_38:                              ;   in Loop: Header=BB19_33 Depth=2
	s_or_b64 exec, exec, s[28:29]
	s_waitcnt vmcnt(0)
	ds_write_b8 v23, v17
	s_and_b64 exec, exec, s[0:1]
	s_cbranch_execz .LBB19_40
; %bb.39:                               ;   in Loop: Header=BB19_33 Depth=2
	ds_read_u8 v17, v20
	s_waitcnt lgkmcnt(0)
	v_add_u16_e32 v16, v17, v16
	ds_write_b8 v20, v16
.LBB19_40:                              ;   in Loop: Header=BB19_33 Depth=2
	s_or_b64 exec, exec, s[26:27]
	s_mov_b64 s[26:27], 0
	v_mov_b32_e32 v25, 0
	s_waitcnt lgkmcnt(0)
	s_barrier
	s_branch .LBB19_43
.LBB19_41:                              ;   in Loop: Header=BB19_43 Depth=3
	s_or_b64 exec, exec, s[30:31]
	v_lshrrev_b32_e32 v17, v25, v0
	v_lshl_or_b32 v16, v17, v24, v16
	v_add_u32_e32 v16, v20, v16
	v_add_u32_e32 v17, v16, v18
	v_add_u32_e32 v16, -1, v16
	ds_read_u8 v18, v17
	ds_read_u8 v16, v16
	s_waitcnt lgkmcnt(0)
	v_add_u16_e32 v16, v16, v18
	ds_write_b8 v17, v16
.LBB19_42:                              ;   in Loop: Header=BB19_43 Depth=3
	s_or_b64 exec, exec, s[28:29]
	v_cmp_eq_u32_e32 vcc, s18, v24
	s_or_b64 s[26:27], vcc, s[26:27]
	v_mov_b32_e32 v25, v24
	s_waitcnt lgkmcnt(0)
	s_barrier
	s_andn2_b64 exec, exec, s[26:27]
	s_cbranch_execz .LBB19_48
.LBB19_43:                              ;   Parent Loop BB19_30 Depth=1
                                        ;     Parent Loop BB19_33 Depth=2
                                        ; =>    This Inner Loop Header: Depth=3
	v_add_u32_e32 v24, 1, v25
	s_and_saveexec_b64 s[28:29], s[6:7]
	s_xor_b64 s[28:29], exec, s[28:29]
; %bb.44:                               ;   in Loop: Header=BB19_43 Depth=3
	v_add_u32_e32 v24, 1, v25
                                        ; implicit-def: $vgpr25
; %bb.45:                               ;   in Loop: Header=BB19_43 Depth=3
	s_andn2_saveexec_b64 s[28:29], s[28:29]
	s_cbranch_execz .LBB19_42
; %bb.46:                               ;   in Loop: Header=BB19_43 Depth=3
	v_lshlrev_b32_e64 v16, v25, 1
	v_ashrrev_i32_e32 v17, 31, v16
	v_cmp_ge_u64_e32 vcc, v[0:1], v[16:17]
	v_mov_b64_e32 v[18:19], v[0:1]
	s_and_saveexec_b64 s[30:31], vcc
	s_cbranch_execz .LBB19_41
; %bb.47:                               ;   in Loop: Header=BB19_43 Depth=3
	v_cvt_f32_u32_e32 v17, v16
	v_sub_u32_e32 v18, 0, v16
	v_rcp_iflag_f32_e32 v17, v17
	s_nop 0
	v_mul_f32_e32 v17, 0x4f7ffffe, v17
	v_cvt_u32_f32_e32 v17, v17
	v_mul_lo_u32 v18, v18, v17
	v_mul_hi_u32 v18, v17, v18
	v_add_u32_e32 v17, v17, v18
	v_mul_hi_u32 v17, v0, v17
	v_mul_lo_u32 v17, v17, v16
	v_sub_u32_e32 v17, v0, v17
	v_sub_u32_e32 v18, v17, v16
	v_cmp_ge_u32_e32 vcc, v17, v16
	s_nop 1
	v_cndmask_b32_e32 v17, v17, v18, vcc
	v_sub_u32_e32 v18, v17, v16
	v_cmp_ge_u32_e32 vcc, v17, v16
	s_nop 1
	v_cndmask_b32_e32 v18, v17, v18, vcc
	s_branch .LBB19_41
.LBB19_48:                              ;   in Loop: Header=BB19_33 Depth=2
	s_or_b64 exec, exec, s[26:27]
	s_and_saveexec_b64 s[26:27], s[4:5]
	s_cbranch_execz .LBB19_32
; %bb.49:                               ;   in Loop: Header=BB19_33 Depth=2
	v_cmp_gt_u64_e32 vcc, s[22:23], v[14:15]
	s_and_saveexec_b64 s[28:29], vcc
	s_cbranch_execz .LBB19_51
; %bb.50:                               ;   in Loop: Header=BB19_33 Depth=2
	ds_read_u8 v16, v22
	v_lshl_add_u64 v[14:15], v[10:11], 0, v[14:15]
	s_waitcnt lgkmcnt(0)
	global_store_byte v[14:15], v16, off
.LBB19_51:                              ;   in Loop: Header=BB19_33 Depth=2
	s_or_b64 exec, exec, s[28:29]
	v_cmp_gt_u64_e32 vcc, s[22:23], v[12:13]
	s_and_b64 exec, exec, vcc
	s_cbranch_execz .LBB19_32
; %bb.52:                               ;   in Loop: Header=BB19_33 Depth=2
	ds_read_u8 v14, v23
	v_lshl_add_u64 v[12:13], v[10:11], 0, v[12:13]
	s_waitcnt lgkmcnt(0)
	global_store_byte v[12:13], v14, off
	s_branch .LBB19_32
.LBB19_53:
	s_endpgm
	.section	.rodata,"a",@progbits
	.p2align	6, 0x0
	.amdhsa_kernel _ZN2at6native32tensor_kernel_scan_innermost_dimIaSt4plusIaEEEvPT_PKS4_jjjS4_T0_
		.amdhsa_group_segment_fixed_size 0
		.amdhsa_private_segment_fixed_size 0
		.amdhsa_kernarg_size 288
		.amdhsa_user_sgpr_count 2
		.amdhsa_user_sgpr_dispatch_ptr 0
		.amdhsa_user_sgpr_queue_ptr 0
		.amdhsa_user_sgpr_kernarg_segment_ptr 1
		.amdhsa_user_sgpr_dispatch_id 0
		.amdhsa_user_sgpr_kernarg_preload_length 0
		.amdhsa_user_sgpr_kernarg_preload_offset 0
		.amdhsa_user_sgpr_private_segment_size 0
		.amdhsa_uses_dynamic_stack 0
		.amdhsa_enable_private_segment 0
		.amdhsa_system_sgpr_workgroup_id_x 1
		.amdhsa_system_sgpr_workgroup_id_y 0
		.amdhsa_system_sgpr_workgroup_id_z 0
		.amdhsa_system_sgpr_workgroup_info 0
		.amdhsa_system_vgpr_workitem_id 1
		.amdhsa_next_free_vgpr 26
		.amdhsa_next_free_sgpr 34
		.amdhsa_accum_offset 28
		.amdhsa_reserve_vcc 1
		.amdhsa_float_round_mode_32 0
		.amdhsa_float_round_mode_16_64 0
		.amdhsa_float_denorm_mode_32 3
		.amdhsa_float_denorm_mode_16_64 3
		.amdhsa_dx10_clamp 1
		.amdhsa_ieee_mode 1
		.amdhsa_fp16_overflow 0
		.amdhsa_tg_split 0
		.amdhsa_exception_fp_ieee_invalid_op 0
		.amdhsa_exception_fp_denorm_src 0
		.amdhsa_exception_fp_ieee_div_zero 0
		.amdhsa_exception_fp_ieee_overflow 0
		.amdhsa_exception_fp_ieee_underflow 0
		.amdhsa_exception_fp_ieee_inexact 0
		.amdhsa_exception_int_div_zero 0
	.end_amdhsa_kernel
	.section	.text._ZN2at6native32tensor_kernel_scan_innermost_dimIaSt4plusIaEEEvPT_PKS4_jjjS4_T0_,"axG",@progbits,_ZN2at6native32tensor_kernel_scan_innermost_dimIaSt4plusIaEEEvPT_PKS4_jjjS4_T0_,comdat
.Lfunc_end19:
	.size	_ZN2at6native32tensor_kernel_scan_innermost_dimIaSt4plusIaEEEvPT_PKS4_jjjS4_T0_, .Lfunc_end19-_ZN2at6native32tensor_kernel_scan_innermost_dimIaSt4plusIaEEEvPT_PKS4_jjjS4_T0_
                                        ; -- End function
	.section	.AMDGPU.csdata,"",@progbits
; Kernel info:
; codeLenInByte = 1572
; NumSgprs: 40
; NumVgprs: 26
; NumAgprs: 0
; TotalNumVgprs: 26
; ScratchSize: 0
; MemoryBound: 0
; FloatMode: 240
; IeeeMode: 1
; LDSByteSize: 0 bytes/workgroup (compile time only)
; SGPRBlocks: 4
; VGPRBlocks: 3
; NumSGPRsForWavesPerEU: 40
; NumVGPRsForWavesPerEU: 26
; AccumOffset: 28
; Occupancy: 8
; WaveLimiterHint : 0
; COMPUTE_PGM_RSRC2:SCRATCH_EN: 0
; COMPUTE_PGM_RSRC2:USER_SGPR: 2
; COMPUTE_PGM_RSRC2:TRAP_HANDLER: 0
; COMPUTE_PGM_RSRC2:TGID_X_EN: 1
; COMPUTE_PGM_RSRC2:TGID_Y_EN: 0
; COMPUTE_PGM_RSRC2:TGID_Z_EN: 0
; COMPUTE_PGM_RSRC2:TIDIG_COMP_CNT: 1
; COMPUTE_PGM_RSRC3_GFX90A:ACCUM_OFFSET: 6
; COMPUTE_PGM_RSRC3_GFX90A:TG_SPLIT: 0
	.section	.text._ZN2at6native28tensor_kernel_scan_outer_dimIajSt4plusIaEEEvPT_PKS4_jjjS4_T1_,"axG",@progbits,_ZN2at6native28tensor_kernel_scan_outer_dimIajSt4plusIaEEEvPT_PKS4_jjjS4_T1_,comdat
	.protected	_ZN2at6native28tensor_kernel_scan_outer_dimIajSt4plusIaEEEvPT_PKS4_jjjS4_T1_ ; -- Begin function _ZN2at6native28tensor_kernel_scan_outer_dimIajSt4plusIaEEEvPT_PKS4_jjjS4_T1_
	.globl	_ZN2at6native28tensor_kernel_scan_outer_dimIajSt4plusIaEEEvPT_PKS4_jjjS4_T1_
	.p2align	8
	.type	_ZN2at6native28tensor_kernel_scan_outer_dimIajSt4plusIaEEEvPT_PKS4_jjjS4_T1_,@function
_ZN2at6native28tensor_kernel_scan_outer_dimIajSt4plusIaEEEvPT_PKS4_jjjS4_T1_: ; @_ZN2at6native28tensor_kernel_scan_outer_dimIajSt4plusIaEEEvPT_PKS4_jjjS4_T1_
; %bb.0:
	s_load_dwordx4 s[8:11], s[0:1], 0x10
	s_waitcnt lgkmcnt(0)
	s_cmp_ge_u32 s2, s8
	s_cbranch_scc1 .LBB20_9
; %bb.1:
	s_load_dword s4, s[0:1], 0x2c
	s_load_dwordx4 s[12:15], s[0:1], 0x0
	s_load_dword s24, s[0:1], 0x20
	s_add_u32 s6, s0, 32
	s_addc_u32 s7, s1, 0
	s_waitcnt lgkmcnt(0)
	s_and_b32 s25, s4, 0xffff
	s_mul_i32 s3, s3, s25
	s_cmp_lg_u32 s10, 0
	v_add_u32_e32 v4, s3, v0
	s_mul_i32 s3, s2, s10
	s_cselect_b64 s[4:5], -1, 0
	s_mov_b32 s17, 0
	s_mul_i32 s16, s3, s9
	s_mul_i32 s3, s24, s10
	v_cndmask_b32_e64 v0, 0, 1, s[4:5]
	v_cmp_gt_u32_e64 s[0:1], s9, v4
	s_mov_b32 s18, s9
	s_mov_b32 s19, s17
	s_mul_i32 s3, s3, s9
	v_cmp_ne_u32_e64 s[4:5], 1, v0
	v_mov_b32_e32 v1, 0
	s_branch .LBB20_3
.LBB20_2:                               ;   in Loop: Header=BB20_3 Depth=1
	s_or_b64 exec, exec, s[20:21]
	s_add_i32 s2, s24, s2
	s_add_i32 s16, s16, s3
	s_cmp_ge_u32 s2, s8
	s_cbranch_scc1 .LBB20_9
.LBB20_3:                               ; =>This Loop Header: Depth=1
                                        ;     Child Loop BB20_6 Depth 2
                                        ;       Child Loop BB20_8 Depth 3
	s_and_saveexec_b64 s[20:21], s[0:1]
	s_cbranch_execz .LBB20_2
; %bb.4:                                ;   in Loop: Header=BB20_3 Depth=1
	s_load_dword s26, s[6:7], 0x4
	s_mov_b64 s[22:23], 0
	v_mov_b32_e32 v0, v4
	s_waitcnt lgkmcnt(0)
	s_mul_i32 s26, s26, s25
	s_branch .LBB20_6
.LBB20_5:                               ;   in Loop: Header=BB20_6 Depth=2
	v_add_u32_e32 v0, s26, v0
	v_cmp_le_u32_e32 vcc, s9, v0
	s_or_b64 s[22:23], vcc, s[22:23]
	s_andn2_b64 exec, exec, s[22:23]
	s_cbranch_execz .LBB20_2
.LBB20_6:                               ;   Parent Loop BB20_3 Depth=1
                                        ; =>  This Loop Header: Depth=2
                                        ;       Child Loop BB20_8 Depth 3
	s_and_b64 vcc, exec, s[4:5]
	s_cbranch_vccnz .LBB20_5
; %bb.7:                                ;   in Loop: Header=BB20_6 Depth=2
	v_lshl_add_u64 v[2:3], s[16:17], 0, v[0:1]
	v_mov_b32_e32 v5, s11
	s_mov_b32 s27, s10
.LBB20_8:                               ;   Parent Loop BB20_3 Depth=1
                                        ;     Parent Loop BB20_6 Depth=2
                                        ; =>    This Inner Loop Header: Depth=3
	v_lshl_add_u64 v[6:7], s[14:15], 0, v[2:3]
	global_load_ubyte v8, v[6:7], off
	s_add_i32 s27, s27, -1
	v_lshl_add_u64 v[6:7], s[12:13], 0, v[2:3]
	v_lshl_add_u64 v[2:3], v[2:3], 0, s[18:19]
	s_cmp_eq_u32 s27, 0
	s_waitcnt vmcnt(0)
	v_add_u16_e32 v5, v8, v5
	global_store_byte v[6:7], v5, off
	s_cbranch_scc0 .LBB20_8
	s_branch .LBB20_5
.LBB20_9:
	s_endpgm
	.section	.rodata,"a",@progbits
	.p2align	6, 0x0
	.amdhsa_kernel _ZN2at6native28tensor_kernel_scan_outer_dimIajSt4plusIaEEEvPT_PKS4_jjjS4_T1_
		.amdhsa_group_segment_fixed_size 0
		.amdhsa_private_segment_fixed_size 0
		.amdhsa_kernarg_size 288
		.amdhsa_user_sgpr_count 2
		.amdhsa_user_sgpr_dispatch_ptr 0
		.amdhsa_user_sgpr_queue_ptr 0
		.amdhsa_user_sgpr_kernarg_segment_ptr 1
		.amdhsa_user_sgpr_dispatch_id 0
		.amdhsa_user_sgpr_kernarg_preload_length 0
		.amdhsa_user_sgpr_kernarg_preload_offset 0
		.amdhsa_user_sgpr_private_segment_size 0
		.amdhsa_uses_dynamic_stack 0
		.amdhsa_enable_private_segment 0
		.amdhsa_system_sgpr_workgroup_id_x 1
		.amdhsa_system_sgpr_workgroup_id_y 1
		.amdhsa_system_sgpr_workgroup_id_z 0
		.amdhsa_system_sgpr_workgroup_info 0
		.amdhsa_system_vgpr_workitem_id 0
		.amdhsa_next_free_vgpr 9
		.amdhsa_next_free_sgpr 28
		.amdhsa_accum_offset 12
		.amdhsa_reserve_vcc 1
		.amdhsa_float_round_mode_32 0
		.amdhsa_float_round_mode_16_64 0
		.amdhsa_float_denorm_mode_32 3
		.amdhsa_float_denorm_mode_16_64 3
		.amdhsa_dx10_clamp 1
		.amdhsa_ieee_mode 1
		.amdhsa_fp16_overflow 0
		.amdhsa_tg_split 0
		.amdhsa_exception_fp_ieee_invalid_op 0
		.amdhsa_exception_fp_denorm_src 0
		.amdhsa_exception_fp_ieee_div_zero 0
		.amdhsa_exception_fp_ieee_overflow 0
		.amdhsa_exception_fp_ieee_underflow 0
		.amdhsa_exception_fp_ieee_inexact 0
		.amdhsa_exception_int_div_zero 0
	.end_amdhsa_kernel
	.section	.text._ZN2at6native28tensor_kernel_scan_outer_dimIajSt4plusIaEEEvPT_PKS4_jjjS4_T1_,"axG",@progbits,_ZN2at6native28tensor_kernel_scan_outer_dimIajSt4plusIaEEEvPT_PKS4_jjjS4_T1_,comdat
.Lfunc_end20:
	.size	_ZN2at6native28tensor_kernel_scan_outer_dimIajSt4plusIaEEEvPT_PKS4_jjjS4_T1_, .Lfunc_end20-_ZN2at6native28tensor_kernel_scan_outer_dimIajSt4plusIaEEEvPT_PKS4_jjjS4_T1_
                                        ; -- End function
	.section	.AMDGPU.csdata,"",@progbits
; Kernel info:
; codeLenInByte = 308
; NumSgprs: 34
; NumVgprs: 9
; NumAgprs: 0
; TotalNumVgprs: 9
; ScratchSize: 0
; MemoryBound: 0
; FloatMode: 240
; IeeeMode: 1
; LDSByteSize: 0 bytes/workgroup (compile time only)
; SGPRBlocks: 4
; VGPRBlocks: 1
; NumSGPRsForWavesPerEU: 34
; NumVGPRsForWavesPerEU: 9
; AccumOffset: 12
; Occupancy: 8
; WaveLimiterHint : 0
; COMPUTE_PGM_RSRC2:SCRATCH_EN: 0
; COMPUTE_PGM_RSRC2:USER_SGPR: 2
; COMPUTE_PGM_RSRC2:TRAP_HANDLER: 0
; COMPUTE_PGM_RSRC2:TGID_X_EN: 1
; COMPUTE_PGM_RSRC2:TGID_Y_EN: 1
; COMPUTE_PGM_RSRC2:TGID_Z_EN: 0
; COMPUTE_PGM_RSRC2:TIDIG_COMP_CNT: 0
; COMPUTE_PGM_RSRC3_GFX90A:ACCUM_OFFSET: 2
; COMPUTE_PGM_RSRC3_GFX90A:TG_SPLIT: 0
	.section	.text._ZN2at6native28tensor_kernel_scan_outer_dimIamSt4plusIaEEEvPT_PKS4_jjjS4_T1_,"axG",@progbits,_ZN2at6native28tensor_kernel_scan_outer_dimIamSt4plusIaEEEvPT_PKS4_jjjS4_T1_,comdat
	.protected	_ZN2at6native28tensor_kernel_scan_outer_dimIamSt4plusIaEEEvPT_PKS4_jjjS4_T1_ ; -- Begin function _ZN2at6native28tensor_kernel_scan_outer_dimIamSt4plusIaEEEvPT_PKS4_jjjS4_T1_
	.globl	_ZN2at6native28tensor_kernel_scan_outer_dimIamSt4plusIaEEEvPT_PKS4_jjjS4_T1_
	.p2align	8
	.type	_ZN2at6native28tensor_kernel_scan_outer_dimIamSt4plusIaEEEvPT_PKS4_jjjS4_T1_,@function
_ZN2at6native28tensor_kernel_scan_outer_dimIamSt4plusIaEEEvPT_PKS4_jjjS4_T1_: ; @_ZN2at6native28tensor_kernel_scan_outer_dimIamSt4plusIaEEEvPT_PKS4_jjjS4_T1_
; %bb.0:
	s_load_dwordx4 s[8:11], s[0:1], 0x10
	s_waitcnt lgkmcnt(0)
	s_cmp_ge_u32 s2, s8
	s_cbranch_scc1 .LBB21_9
; %bb.1:
	s_load_dword s4, s[0:1], 0x2c
	s_load_dwordx4 s[12:15], s[0:1], 0x0
	s_load_dword s24, s[0:1], 0x20
	s_add_u32 s6, s0, 32
	s_addc_u32 s7, s1, 0
	s_waitcnt lgkmcnt(0)
	s_and_b32 s25, s4, 0xffff
	s_cmp_lg_u32 s10, 0
	s_mul_i32 s3, s3, s25
	s_cselect_b64 s[4:5], -1, 0
	v_add_u32_e32 v4, s3, v0
	v_cndmask_b32_e64 v0, 0, 1, s[4:5]
	v_cmp_gt_u32_e64 s[0:1], s9, v4
	s_mov_b32 s17, 0
	s_mov_b32 s16, s9
	s_mul_hi_u32 s3, s10, s9
	s_mul_i32 s26, s10, s9
	v_cmp_ne_u32_e64 s[4:5], 1, v0
	v_mov_b32_e32 v1, 0
	s_branch .LBB21_3
.LBB21_2:                               ;   in Loop: Header=BB21_3 Depth=1
	s_or_b64 exec, exec, s[18:19]
	s_add_i32 s2, s2, s24
	s_cmp_ge_u32 s2, s8
	s_cbranch_scc1 .LBB21_9
.LBB21_3:                               ; =>This Loop Header: Depth=1
                                        ;     Child Loop BB21_6 Depth 2
                                        ;       Child Loop BB21_8 Depth 3
	s_and_saveexec_b64 s[18:19], s[0:1]
	s_cbranch_execz .LBB21_2
; %bb.4:                                ;   in Loop: Header=BB21_3 Depth=1
	s_load_dword s27, s[6:7], 0x4
	s_mul_i32 s21, s3, s2
	s_mul_hi_u32 s22, s26, s2
	s_mul_i32 s20, s26, s2
	s_add_i32 s21, s22, s21
	s_waitcnt lgkmcnt(0)
	s_mul_i32 s27, s27, s25
	s_mov_b64 s[22:23], 0
	v_mov_b32_e32 v0, v4
	s_branch .LBB21_6
.LBB21_5:                               ;   in Loop: Header=BB21_6 Depth=2
	v_add_u32_e32 v0, s27, v0
	v_cmp_le_u32_e32 vcc, s9, v0
	s_or_b64 s[22:23], vcc, s[22:23]
	s_andn2_b64 exec, exec, s[22:23]
	s_cbranch_execz .LBB21_2
.LBB21_6:                               ;   Parent Loop BB21_3 Depth=1
                                        ; =>  This Loop Header: Depth=2
                                        ;       Child Loop BB21_8 Depth 3
	s_and_b64 vcc, exec, s[4:5]
	s_cbranch_vccnz .LBB21_5
; %bb.7:                                ;   in Loop: Header=BB21_6 Depth=2
	v_lshl_add_u64 v[2:3], s[20:21], 0, v[0:1]
	v_mov_b32_e32 v5, s11
	s_mov_b32 s28, s10
.LBB21_8:                               ;   Parent Loop BB21_3 Depth=1
                                        ;     Parent Loop BB21_6 Depth=2
                                        ; =>    This Inner Loop Header: Depth=3
	v_lshl_add_u64 v[6:7], s[14:15], 0, v[2:3]
	global_load_ubyte v8, v[6:7], off
	s_add_i32 s28, s28, -1
	v_lshl_add_u64 v[6:7], s[12:13], 0, v[2:3]
	v_lshl_add_u64 v[2:3], v[2:3], 0, s[16:17]
	s_cmp_eq_u32 s28, 0
	s_waitcnt vmcnt(0)
	v_add_u16_e32 v5, v8, v5
	global_store_byte v[6:7], v5, off
	s_cbranch_scc0 .LBB21_8
	s_branch .LBB21_5
.LBB21_9:
	s_endpgm
	.section	.rodata,"a",@progbits
	.p2align	6, 0x0
	.amdhsa_kernel _ZN2at6native28tensor_kernel_scan_outer_dimIamSt4plusIaEEEvPT_PKS4_jjjS4_T1_
		.amdhsa_group_segment_fixed_size 0
		.amdhsa_private_segment_fixed_size 0
		.amdhsa_kernarg_size 288
		.amdhsa_user_sgpr_count 2
		.amdhsa_user_sgpr_dispatch_ptr 0
		.amdhsa_user_sgpr_queue_ptr 0
		.amdhsa_user_sgpr_kernarg_segment_ptr 1
		.amdhsa_user_sgpr_dispatch_id 0
		.amdhsa_user_sgpr_kernarg_preload_length 0
		.amdhsa_user_sgpr_kernarg_preload_offset 0
		.amdhsa_user_sgpr_private_segment_size 0
		.amdhsa_uses_dynamic_stack 0
		.amdhsa_enable_private_segment 0
		.amdhsa_system_sgpr_workgroup_id_x 1
		.amdhsa_system_sgpr_workgroup_id_y 1
		.amdhsa_system_sgpr_workgroup_id_z 0
		.amdhsa_system_sgpr_workgroup_info 0
		.amdhsa_system_vgpr_workitem_id 0
		.amdhsa_next_free_vgpr 9
		.amdhsa_next_free_sgpr 29
		.amdhsa_accum_offset 12
		.amdhsa_reserve_vcc 1
		.amdhsa_float_round_mode_32 0
		.amdhsa_float_round_mode_16_64 0
		.amdhsa_float_denorm_mode_32 3
		.amdhsa_float_denorm_mode_16_64 3
		.amdhsa_dx10_clamp 1
		.amdhsa_ieee_mode 1
		.amdhsa_fp16_overflow 0
		.amdhsa_tg_split 0
		.amdhsa_exception_fp_ieee_invalid_op 0
		.amdhsa_exception_fp_denorm_src 0
		.amdhsa_exception_fp_ieee_div_zero 0
		.amdhsa_exception_fp_ieee_overflow 0
		.amdhsa_exception_fp_ieee_underflow 0
		.amdhsa_exception_fp_ieee_inexact 0
		.amdhsa_exception_int_div_zero 0
	.end_amdhsa_kernel
	.section	.text._ZN2at6native28tensor_kernel_scan_outer_dimIamSt4plusIaEEEvPT_PKS4_jjjS4_T1_,"axG",@progbits,_ZN2at6native28tensor_kernel_scan_outer_dimIamSt4plusIaEEEvPT_PKS4_jjjS4_T1_,comdat
.Lfunc_end21:
	.size	_ZN2at6native28tensor_kernel_scan_outer_dimIamSt4plusIaEEEvPT_PKS4_jjjS4_T1_, .Lfunc_end21-_ZN2at6native28tensor_kernel_scan_outer_dimIamSt4plusIaEEEvPT_PKS4_jjjS4_T1_
                                        ; -- End function
	.section	.AMDGPU.csdata,"",@progbits
; Kernel info:
; codeLenInByte = 308
; NumSgprs: 35
; NumVgprs: 9
; NumAgprs: 0
; TotalNumVgprs: 9
; ScratchSize: 0
; MemoryBound: 0
; FloatMode: 240
; IeeeMode: 1
; LDSByteSize: 0 bytes/workgroup (compile time only)
; SGPRBlocks: 4
; VGPRBlocks: 1
; NumSGPRsForWavesPerEU: 35
; NumVGPRsForWavesPerEU: 9
; AccumOffset: 12
; Occupancy: 8
; WaveLimiterHint : 0
; COMPUTE_PGM_RSRC2:SCRATCH_EN: 0
; COMPUTE_PGM_RSRC2:USER_SGPR: 2
; COMPUTE_PGM_RSRC2:TRAP_HANDLER: 0
; COMPUTE_PGM_RSRC2:TGID_X_EN: 1
; COMPUTE_PGM_RSRC2:TGID_Y_EN: 1
; COMPUTE_PGM_RSRC2:TGID_Z_EN: 0
; COMPUTE_PGM_RSRC2:TIDIG_COMP_CNT: 0
; COMPUTE_PGM_RSRC3_GFX90A:ACCUM_OFFSET: 2
; COMPUTE_PGM_RSRC3_GFX90A:TG_SPLIT: 0
	.section	.text._ZN2at4cuda3cub15calc_block_sumsILi512ELi16ELb0EiiEEvPKT2_PT3_li,"axG",@progbits,_ZN2at4cuda3cub15calc_block_sumsILi512ELi16ELb0EiiEEvPKT2_PT3_li,comdat
	.protected	_ZN2at4cuda3cub15calc_block_sumsILi512ELi16ELb0EiiEEvPKT2_PT3_li ; -- Begin function _ZN2at4cuda3cub15calc_block_sumsILi512ELi16ELb0EiiEEvPKT2_PT3_li
	.globl	_ZN2at4cuda3cub15calc_block_sumsILi512ELi16ELb0EiiEEvPKT2_PT3_li
	.p2align	8
	.type	_ZN2at4cuda3cub15calc_block_sumsILi512ELi16ELb0EiiEEvPKT2_PT3_li,@function
_ZN2at4cuda3cub15calc_block_sumsILi512ELi16ELb0EiiEEvPKT2_PT3_li: ; @_ZN2at4cuda3cub15calc_block_sumsILi512ELi16ELb0EiiEEvPKT2_PT3_li
; %bb.0:
	s_load_dword s28, s[0:1], 0x18
	s_load_dwordx2 s[4:5], s[0:1], 0x10
	s_waitcnt lgkmcnt(0)
	s_lshl_b32 s3, s28, 13
	s_ashr_i32 s6, s3, 31
	s_mul_hi_u32 s7, s3, s2
	s_mul_i32 s6, s6, s2
	s_add_i32 s7, s7, s6
	s_mul_i32 s6, s3, s2
	s_sub_u32 s24, s4, s6
	s_subb_u32 s25, s5, s7
	v_cmp_lt_i64_e64 s[8:9], s[24:25], 1
	s_and_b64 vcc, exec, s[8:9]
	s_cbranch_vccnz .LBB22_54
; %bb.1:
	s_load_dwordx4 s[20:23], s[0:1], 0x0
	s_cmp_gt_i32 s28, 0
	s_mov_b32 s3, 0
	s_cbranch_scc1 .LBB22_3
; %bb.2:
	s_mov_b64 s[26:27], 0
	v_mov_b32_e32 v35, s3
	s_cbranch_execz .LBB22_4
	s_branch .LBB22_52
.LBB22_3:
	s_mov_b64 s[26:27], -1
	v_mov_b32_e32 v35, s3
.LBB22_4:
	s_mul_i32 s5, s2, s28
	s_lshl_b32 s5, s5, 13
	s_sub_i32 s29, s4, s5
	s_lshl_b64 s[4:5], s[6:7], 2
	v_lshrrev_b32_e32 v2, 4, v0
	s_waitcnt lgkmcnt(0)
	s_add_u32 s4, s20, s4
	v_and_b32_e32 v39, 60, v2
	v_lshlrev_b32_e32 v2, 2, v0
	v_mov_b32_e32 v3, 0
	s_addc_u32 s5, s21, s5
	v_lshl_add_u64 v[22:23], s[4:5], 0, v[2:3]
	v_mbcnt_lo_u32_b32 v2, -1, 0
	v_mbcnt_hi_u32_b32 v40, -1, v2
	v_bfrev_b32_e32 v2, 0.5
	v_add_u32_e32 v1, 0x200, v0
	v_or_b32_e32 v24, 0x400, v0
	v_add_u32_e32 v25, 0x600, v0
	v_or_b32_e32 v26, 0x800, v0
	;; [unrolled: 2-line block ×7, first 2 shown]
	v_add_u32_e32 v38, 0x1e00, v0
	v_cmp_gt_u32_e64 s[0:1], 64, v0
	s_mov_b32 s4, 0
	s_mov_b64 s[26:27], -1
	v_mov_b64_e32 v[20:21], 0x2000
	s_mov_b64 s[20:21], 0x8000
	v_lshl_or_b32 v41, v40, 2, v2
	v_mov_b32_e32 v35, 0
	s_mov_b32 s30, 0
	s_branch .LBB22_6
.LBB22_5:                               ;   in Loop: Header=BB22_6 Depth=1
	s_add_u32 s24, s24, 0xffffe000
	s_addc_u32 s25, s25, -1
	s_add_i32 s30, s30, 1
	s_cmp_lt_i32 s30, s28
	s_cselect_b64 s[26:27], -1, 0
	s_addk_i32 s29, 0xe000
	s_cmp_eq_u32 s28, s30
	v_lshl_add_u64 v[22:23], v[22:23], 0, s[20:21]
	s_cselect_b64 s[6:7], -1, 0
	s_barrier
	s_andn2_b64 vcc, exec, s[6:7]
	s_cbranch_vccz .LBB22_52
.LBB22_6:                               ; =>This Inner Loop Header: Depth=1
	v_cmp_lt_i64_e32 vcc, s[24:25], v[20:21]
	s_mov_b64 s[6:7], -1
                                        ; implicit-def: $vgpr2
	s_cbranch_vccz .LBB22_29
; %bb.7:                                ;   in Loop: Header=BB22_6 Depth=1
	s_mov_b32 s5, s4
	s_mov_b32 s6, s4
	;; [unrolled: 1-line block ×15, first 2 shown]
	v_mov_b64_e32 v[4:5], s[4:5]
	v_cmp_gt_u32_e32 vcc, s29, v0
	v_mov_b64_e32 v[6:7], s[6:7]
	v_mov_b64_e32 v[8:9], s[8:9]
	;; [unrolled: 1-line block ×7, first 2 shown]
	s_and_saveexec_b64 s[6:7], vcc
	s_cbranch_execnz .LBB22_37
; %bb.8:                                ;   in Loop: Header=BB22_6 Depth=1
	s_or_b64 exec, exec, s[6:7]
	v_cmp_gt_u32_e32 vcc, s29, v1
	s_and_saveexec_b64 s[6:7], vcc
	s_cbranch_execnz .LBB22_38
.LBB22_9:                               ;   in Loop: Header=BB22_6 Depth=1
	s_or_b64 exec, exec, s[6:7]
	v_cmp_gt_u32_e32 vcc, s29, v24
	s_and_saveexec_b64 s[6:7], vcc
	s_cbranch_execnz .LBB22_39
.LBB22_10:                              ;   in Loop: Header=BB22_6 Depth=1
	s_or_b64 exec, exec, s[6:7]
	v_cmp_gt_u32_e32 vcc, s29, v25
	s_and_saveexec_b64 s[6:7], vcc
	s_cbranch_execnz .LBB22_40
.LBB22_11:                              ;   in Loop: Header=BB22_6 Depth=1
	s_or_b64 exec, exec, s[6:7]
	v_cmp_gt_u32_e32 vcc, s29, v26
	s_and_saveexec_b64 s[6:7], vcc
	s_cbranch_execnz .LBB22_41
.LBB22_12:                              ;   in Loop: Header=BB22_6 Depth=1
	s_or_b64 exec, exec, s[6:7]
	v_cmp_gt_u32_e32 vcc, s29, v27
	s_and_saveexec_b64 s[6:7], vcc
	s_cbranch_execnz .LBB22_42
.LBB22_13:                              ;   in Loop: Header=BB22_6 Depth=1
	s_or_b64 exec, exec, s[6:7]
	v_cmp_gt_u32_e32 vcc, s29, v28
	s_and_saveexec_b64 s[6:7], vcc
	s_cbranch_execnz .LBB22_43
.LBB22_14:                              ;   in Loop: Header=BB22_6 Depth=1
	s_or_b64 exec, exec, s[6:7]
	v_cmp_gt_u32_e32 vcc, s29, v29
	s_and_saveexec_b64 s[6:7], vcc
	s_cbranch_execnz .LBB22_44
.LBB22_15:                              ;   in Loop: Header=BB22_6 Depth=1
	s_or_b64 exec, exec, s[6:7]
	v_cmp_gt_u32_e32 vcc, s29, v30
	s_and_saveexec_b64 s[6:7], vcc
	s_cbranch_execnz .LBB22_45
.LBB22_16:                              ;   in Loop: Header=BB22_6 Depth=1
	s_or_b64 exec, exec, s[6:7]
	v_cmp_gt_u32_e32 vcc, s29, v31
	s_and_saveexec_b64 s[6:7], vcc
	s_cbranch_execnz .LBB22_46
.LBB22_17:                              ;   in Loop: Header=BB22_6 Depth=1
	s_or_b64 exec, exec, s[6:7]
	v_cmp_gt_u32_e32 vcc, s29, v32
	s_and_saveexec_b64 s[6:7], vcc
	s_cbranch_execnz .LBB22_47
.LBB22_18:                              ;   in Loop: Header=BB22_6 Depth=1
	s_or_b64 exec, exec, s[6:7]
	v_cmp_gt_u32_e32 vcc, s29, v33
	s_and_saveexec_b64 s[6:7], vcc
	s_cbranch_execnz .LBB22_48
.LBB22_19:                              ;   in Loop: Header=BB22_6 Depth=1
	s_or_b64 exec, exec, s[6:7]
	v_cmp_gt_u32_e32 vcc, s29, v34
	s_and_saveexec_b64 s[6:7], vcc
	s_cbranch_execnz .LBB22_49
.LBB22_20:                              ;   in Loop: Header=BB22_6 Depth=1
	s_or_b64 exec, exec, s[6:7]
	v_cmp_gt_u32_e32 vcc, s29, v36
	s_and_saveexec_b64 s[6:7], vcc
	s_cbranch_execnz .LBB22_50
.LBB22_21:                              ;   in Loop: Header=BB22_6 Depth=1
	s_or_b64 exec, exec, s[6:7]
	v_cmp_gt_u32_e32 vcc, s29, v37
	s_and_saveexec_b64 s[6:7], vcc
	s_cbranch_execnz .LBB22_51
.LBB22_22:                              ;   in Loop: Header=BB22_6 Depth=1
	s_or_b64 exec, exec, s[6:7]
	v_cmp_gt_u32_e32 vcc, s29, v38
	s_and_saveexec_b64 s[6:7], vcc
	s_cbranch_execz .LBB22_24
.LBB22_23:                              ;   in Loop: Header=BB22_6 Depth=1
	v_add_co_u32_e32 v42, vcc, 0x7000, v22
	s_nop 1
	v_addc_co_u32_e32 v43, vcc, 0, v23, vcc
	global_load_dword v19, v[42:43], off offset:2048
.LBB22_24:                              ;   in Loop: Header=BB22_6 Depth=1
	s_or_b64 exec, exec, s[6:7]
	s_waitcnt vmcnt(0)
	v_add_u32_e32 v2, v5, v4
	v_add3_u32 v2, v2, v6, v7
	v_add3_u32 v2, v2, v8, v9
	;; [unrolled: 1-line block ×7, first 2 shown]
	v_cmp_eq_u32_e32 vcc, 0, v40
	s_nop 0
	v_mov_b32_dpp v4, v2 quad_perm:[1,0,3,2] row_mask:0xf bank_mask:0xf
	v_add_u32_e32 v2, v2, v4
	s_barrier
	s_nop 0
	v_mov_b32_dpp v4, v2 quad_perm:[2,3,0,1] row_mask:0xf bank_mask:0xf
	v_add_u32_e32 v2, v2, v4
	s_nop 1
	v_mov_b32_dpp v4, v2 row_ror:4 row_mask:0xf bank_mask:0xf
	v_add_u32_e32 v2, v2, v4
	s_nop 1
	v_mov_b32_dpp v4, v2 row_ror:8 row_mask:0xf bank_mask:0xf
	v_add_u32_e32 v2, v2, v4
	s_nop 1
	v_mov_b32_dpp v4, v2 row_bcast:15 row_mask:0xf bank_mask:0xf
	v_add_u32_e32 v2, v2, v4
	s_nop 1
	v_mov_b32_dpp v4, v2 row_bcast:31 row_mask:0xf bank_mask:0xf
	v_add_u32_e32 v2, v2, v4
	ds_bpermute_b32 v2, v41, v2
	s_and_saveexec_b64 s[6:7], vcc
	s_cbranch_execz .LBB22_26
; %bb.25:                               ;   in Loop: Header=BB22_6 Depth=1
	s_waitcnt lgkmcnt(0)
	ds_write_b32 v39, v2
.LBB22_26:                              ;   in Loop: Header=BB22_6 Depth=1
	s_or_b64 exec, exec, s[6:7]
	s_waitcnt lgkmcnt(0)
	s_barrier
	s_and_saveexec_b64 s[6:7], s[0:1]
	s_cbranch_execz .LBB22_28
; %bb.27:                               ;   in Loop: Header=BB22_6 Depth=1
	v_and_b32_e32 v2, 7, v40
	v_lshlrev_b32_e32 v4, 2, v2
	ds_read_b32 v4, v4
	v_cmp_ne_u32_e32 vcc, 7, v2
	s_nop 1
	v_addc_co_u32_e32 v5, vcc, 0, v40, vcc
	v_lshlrev_b32_e32 v5, 2, v5
	s_waitcnt lgkmcnt(0)
	ds_bpermute_b32 v5, v5, v4
	v_cmp_gt_u32_e32 vcc, 6, v2
	s_waitcnt lgkmcnt(0)
	v_add_u32_e32 v4, v5, v4
	v_cndmask_b32_e64 v6, 0, 1, vcc
	v_lshlrev_b32_e32 v6, 1, v6
	v_add_lshl_u32 v6, v6, v40, 2
	ds_bpermute_b32 v5, v6, v4
	v_cmp_gt_u32_e32 vcc, 4, v2
	s_waitcnt lgkmcnt(0)
	v_add_u32_e32 v4, v5, v4
	v_cndmask_b32_e64 v2, 0, 1, vcc
	v_lshlrev_b32_e32 v2, 2, v2
	v_add_lshl_u32 v2, v2, v40, 2
	ds_bpermute_b32 v2, v2, v4
	s_waitcnt lgkmcnt(0)
	v_add_u32_e32 v2, v2, v4
.LBB22_28:                              ;   in Loop: Header=BB22_6 Depth=1
	s_or_b64 exec, exec, s[6:7]
	s_mov_b64 s[6:7], 0
.LBB22_29:                              ;   in Loop: Header=BB22_6 Depth=1
	s_and_b64 vcc, exec, s[6:7]
	s_cbranch_vccz .LBB22_35
; %bb.30:                               ;   in Loop: Header=BB22_6 Depth=1
	v_add_co_u32_e32 v4, vcc, 0x1000, v22
	global_load_dword v2, v[22:23], off
	global_load_dword v12, v[22:23], off offset:2048
	v_addc_co_u32_e32 v5, vcc, 0, v23, vcc
	v_add_co_u32_e32 v6, vcc, 0x2000, v22
	s_waitcnt vmcnt(0)
	v_add_u32_e32 v2, v12, v2
	v_addc_co_u32_e32 v7, vcc, 0, v23, vcc
	v_add_co_u32_e32 v8, vcc, 0x3000, v22
	s_nop 1
	v_addc_co_u32_e32 v9, vcc, 0, v23, vcc
	v_add_co_u32_e32 v10, vcc, 0x4000, v22
	s_nop 1
	v_addc_co_u32_e32 v11, vcc, 0, v23, vcc
	global_load_dword v13, v[4:5], off
	global_load_dword v14, v[4:5], off offset:2048
	global_load_dword v15, v[6:7], off
	global_load_dword v16, v[6:7], off offset:2048
	;; [unrolled: 2-line block ×4, first 2 shown]
	v_add_co_u32_e32 v4, vcc, 0x5000, v22
	s_waitcnt vmcnt(6)
	v_add3_u32 v2, v2, v13, v14
	v_addc_co_u32_e32 v5, vcc, 0, v23, vcc
	v_add_co_u32_e32 v6, vcc, 0x6000, v22
	s_waitcnt vmcnt(4)
	v_add3_u32 v2, v2, v15, v16
	v_addc_co_u32_e32 v7, vcc, 0, v23, vcc
	;; [unrolled: 4-line block ×3, first 2 shown]
	global_load_dword v10, v[4:5], off
	global_load_dword v11, v[4:5], off offset:2048
	global_load_dword v43, v[6:7], off
	global_load_dword v44, v[6:7], off offset:2048
	;; [unrolled: 2-line block ×3, first 2 shown]
	s_waitcnt vmcnt(6)
	v_add3_u32 v2, v2, v19, v42
	v_cmp_eq_u32_e32 vcc, 0, v40
	s_barrier
	s_waitcnt vmcnt(4)
	v_add3_u32 v2, v2, v10, v11
	s_waitcnt vmcnt(2)
	v_add3_u32 v2, v2, v43, v44
	;; [unrolled: 2-line block ×3, first 2 shown]
	s_nop 1
	v_mov_b32_dpp v4, v2 quad_perm:[1,0,3,2] row_mask:0xf bank_mask:0xf
	v_add_u32_e32 v2, v4, v2
	s_nop 1
	v_mov_b32_dpp v4, v2 quad_perm:[2,3,0,1] row_mask:0xf bank_mask:0xf
	v_add_u32_e32 v2, v2, v4
	s_nop 1
	v_mov_b32_dpp v4, v2 row_ror:4 row_mask:0xf bank_mask:0xf
	v_add_u32_e32 v2, v2, v4
	s_nop 1
	v_mov_b32_dpp v4, v2 row_ror:8 row_mask:0xf bank_mask:0xf
	v_add_u32_e32 v2, v2, v4
	s_nop 1
	v_mov_b32_dpp v4, v2 row_bcast:15 row_mask:0xf bank_mask:0xf
	v_add_u32_e32 v2, v2, v4
	s_nop 1
	v_mov_b32_dpp v4, v2 row_bcast:31 row_mask:0xf bank_mask:0xf
	v_add_u32_e32 v2, v2, v4
	ds_bpermute_b32 v2, v41, v2
	s_and_saveexec_b64 s[6:7], vcc
	s_cbranch_execz .LBB22_32
; %bb.31:                               ;   in Loop: Header=BB22_6 Depth=1
	s_waitcnt lgkmcnt(0)
	ds_write_b32 v39, v2
.LBB22_32:                              ;   in Loop: Header=BB22_6 Depth=1
	s_or_b64 exec, exec, s[6:7]
	s_waitcnt lgkmcnt(0)
	s_barrier
	s_and_saveexec_b64 s[6:7], s[0:1]
	s_cbranch_execz .LBB22_34
; %bb.33:                               ;   in Loop: Header=BB22_6 Depth=1
	v_and_b32_e32 v2, 7, v40
	v_lshlrev_b32_e32 v4, 2, v2
	ds_read_b32 v4, v4
	v_cmp_ne_u32_e32 vcc, 7, v2
	s_nop 1
	v_addc_co_u32_e32 v5, vcc, 0, v40, vcc
	v_lshlrev_b32_e32 v5, 2, v5
	s_waitcnt lgkmcnt(0)
	ds_bpermute_b32 v5, v5, v4
	v_cmp_gt_u32_e32 vcc, 6, v2
	s_waitcnt lgkmcnt(0)
	v_add_u32_e32 v4, v5, v4
	v_cndmask_b32_e64 v6, 0, 1, vcc
	v_lshlrev_b32_e32 v6, 1, v6
	v_add_lshl_u32 v6, v6, v40, 2
	ds_bpermute_b32 v5, v6, v4
	v_cmp_gt_u32_e32 vcc, 4, v2
	s_waitcnt lgkmcnt(0)
	v_add_u32_e32 v4, v5, v4
	v_cndmask_b32_e64 v2, 0, 1, vcc
	v_lshlrev_b32_e32 v2, 2, v2
	v_add_lshl_u32 v2, v2, v40, 2
	ds_bpermute_b32 v2, v2, v4
	s_waitcnt lgkmcnt(0)
	v_add_u32_e32 v2, v2, v4
.LBB22_34:                              ;   in Loop: Header=BB22_6 Depth=1
	s_or_b64 exec, exec, s[6:7]
.LBB22_35:                              ;   in Loop: Header=BB22_6 Depth=1
	v_mov_b64_e32 v[4:5], 0x2001
	v_cmp_lt_i64_e32 vcc, s[24:25], v[4:5]
	v_add_u32_e32 v35, v2, v35
	s_cbranch_vccz .LBB22_5
; %bb.36:
                                        ; implicit-def: $sgpr30
                                        ; implicit-def: $sgpr24_sgpr25
                                        ; implicit-def: $sgpr29
                                        ; implicit-def: $vgpr22_vgpr23
	s_branch .LBB22_52
.LBB22_37:                              ;   in Loop: Header=BB22_6 Depth=1
	global_load_dword v2, v[22:23], off
	v_mov_b32_e32 v4, v3
	v_mov_b32_e32 v5, v3
	;; [unrolled: 1-line block ×14, first 2 shown]
	s_waitcnt vmcnt(0)
	v_mov_b64_e32 v[18:19], v[16:17]
	v_mov_b64_e32 v[16:17], v[14:15]
	;; [unrolled: 1-line block ×8, first 2 shown]
	s_or_b64 exec, exec, s[6:7]
	v_cmp_gt_u32_e32 vcc, s29, v1
	s_and_saveexec_b64 s[6:7], vcc
	s_cbranch_execz .LBB22_9
.LBB22_38:                              ;   in Loop: Header=BB22_6 Depth=1
	global_load_dword v5, v[22:23], off offset:2048
	s_or_b64 exec, exec, s[6:7]
	v_cmp_gt_u32_e32 vcc, s29, v24
	s_and_saveexec_b64 s[6:7], vcc
	s_cbranch_execz .LBB22_10
.LBB22_39:                              ;   in Loop: Header=BB22_6 Depth=1
	v_add_co_u32_e32 v42, vcc, 0x1000, v22
	s_nop 1
	v_addc_co_u32_e32 v43, vcc, 0, v23, vcc
	global_load_dword v6, v[42:43], off
	s_or_b64 exec, exec, s[6:7]
	v_cmp_gt_u32_e32 vcc, s29, v25
	s_and_saveexec_b64 s[6:7], vcc
	s_cbranch_execz .LBB22_11
.LBB22_40:                              ;   in Loop: Header=BB22_6 Depth=1
	v_add_co_u32_e32 v42, vcc, 0x1000, v22
	s_nop 1
	v_addc_co_u32_e32 v43, vcc, 0, v23, vcc
	global_load_dword v7, v[42:43], off offset:2048
	s_or_b64 exec, exec, s[6:7]
	v_cmp_gt_u32_e32 vcc, s29, v26
	s_and_saveexec_b64 s[6:7], vcc
	s_cbranch_execz .LBB22_12
.LBB22_41:                              ;   in Loop: Header=BB22_6 Depth=1
	v_add_co_u32_e32 v42, vcc, 0x2000, v22
	s_nop 1
	v_addc_co_u32_e32 v43, vcc, 0, v23, vcc
	global_load_dword v8, v[42:43], off
	s_or_b64 exec, exec, s[6:7]
	v_cmp_gt_u32_e32 vcc, s29, v27
	s_and_saveexec_b64 s[6:7], vcc
	s_cbranch_execz .LBB22_13
.LBB22_42:                              ;   in Loop: Header=BB22_6 Depth=1
	v_add_co_u32_e32 v42, vcc, 0x2000, v22
	s_nop 1
	v_addc_co_u32_e32 v43, vcc, 0, v23, vcc
	global_load_dword v9, v[42:43], off offset:2048
	s_or_b64 exec, exec, s[6:7]
	v_cmp_gt_u32_e32 vcc, s29, v28
	s_and_saveexec_b64 s[6:7], vcc
	s_cbranch_execz .LBB22_14
.LBB22_43:                              ;   in Loop: Header=BB22_6 Depth=1
	v_add_co_u32_e32 v42, vcc, 0x3000, v22
	s_nop 1
	v_addc_co_u32_e32 v43, vcc, 0, v23, vcc
	global_load_dword v10, v[42:43], off
	s_or_b64 exec, exec, s[6:7]
	v_cmp_gt_u32_e32 vcc, s29, v29
	s_and_saveexec_b64 s[6:7], vcc
	s_cbranch_execz .LBB22_15
.LBB22_44:                              ;   in Loop: Header=BB22_6 Depth=1
	v_add_co_u32_e32 v42, vcc, 0x3000, v22
	s_nop 1
	v_addc_co_u32_e32 v43, vcc, 0, v23, vcc
	global_load_dword v11, v[42:43], off offset:2048
	s_or_b64 exec, exec, s[6:7]
	v_cmp_gt_u32_e32 vcc, s29, v30
	s_and_saveexec_b64 s[6:7], vcc
	s_cbranch_execz .LBB22_16
.LBB22_45:                              ;   in Loop: Header=BB22_6 Depth=1
	v_add_co_u32_e32 v42, vcc, 0x4000, v22
	s_nop 1
	v_addc_co_u32_e32 v43, vcc, 0, v23, vcc
	global_load_dword v12, v[42:43], off
	s_or_b64 exec, exec, s[6:7]
	v_cmp_gt_u32_e32 vcc, s29, v31
	s_and_saveexec_b64 s[6:7], vcc
	s_cbranch_execz .LBB22_17
.LBB22_46:                              ;   in Loop: Header=BB22_6 Depth=1
	v_add_co_u32_e32 v42, vcc, 0x4000, v22
	s_nop 1
	v_addc_co_u32_e32 v43, vcc, 0, v23, vcc
	global_load_dword v13, v[42:43], off offset:2048
	s_or_b64 exec, exec, s[6:7]
	v_cmp_gt_u32_e32 vcc, s29, v32
	s_and_saveexec_b64 s[6:7], vcc
	s_cbranch_execz .LBB22_18
.LBB22_47:                              ;   in Loop: Header=BB22_6 Depth=1
	v_add_co_u32_e32 v42, vcc, 0x5000, v22
	s_nop 1
	v_addc_co_u32_e32 v43, vcc, 0, v23, vcc
	global_load_dword v14, v[42:43], off
	s_or_b64 exec, exec, s[6:7]
	v_cmp_gt_u32_e32 vcc, s29, v33
	s_and_saveexec_b64 s[6:7], vcc
	s_cbranch_execz .LBB22_19
.LBB22_48:                              ;   in Loop: Header=BB22_6 Depth=1
	v_add_co_u32_e32 v42, vcc, 0x5000, v22
	s_nop 1
	v_addc_co_u32_e32 v43, vcc, 0, v23, vcc
	global_load_dword v15, v[42:43], off offset:2048
	s_or_b64 exec, exec, s[6:7]
	v_cmp_gt_u32_e32 vcc, s29, v34
	s_and_saveexec_b64 s[6:7], vcc
	s_cbranch_execz .LBB22_20
.LBB22_49:                              ;   in Loop: Header=BB22_6 Depth=1
	v_add_co_u32_e32 v42, vcc, 0x6000, v22
	s_nop 1
	v_addc_co_u32_e32 v43, vcc, 0, v23, vcc
	global_load_dword v16, v[42:43], off
	s_or_b64 exec, exec, s[6:7]
	v_cmp_gt_u32_e32 vcc, s29, v36
	s_and_saveexec_b64 s[6:7], vcc
	s_cbranch_execz .LBB22_21
.LBB22_50:                              ;   in Loop: Header=BB22_6 Depth=1
	v_add_co_u32_e32 v42, vcc, 0x6000, v22
	s_nop 1
	v_addc_co_u32_e32 v43, vcc, 0, v23, vcc
	global_load_dword v17, v[42:43], off offset:2048
	s_or_b64 exec, exec, s[6:7]
	v_cmp_gt_u32_e32 vcc, s29, v37
	s_and_saveexec_b64 s[6:7], vcc
	s_cbranch_execz .LBB22_22
.LBB22_51:                              ;   in Loop: Header=BB22_6 Depth=1
	v_add_co_u32_e32 v42, vcc, 0x7000, v22
	s_nop 1
	v_addc_co_u32_e32 v43, vcc, 0, v23, vcc
	global_load_dword v18, v[42:43], off
	s_or_b64 exec, exec, s[6:7]
	v_cmp_gt_u32_e32 vcc, s29, v38
	s_and_saveexec_b64 s[6:7], vcc
	s_cbranch_execnz .LBB22_23
	s_branch .LBB22_24
.LBB22_52:
	v_cmp_eq_u32_e32 vcc, 0, v0
	s_xor_b64 s[0:1], s[26:27], -1
	s_and_b64 s[0:1], vcc, s[0:1]
	s_and_saveexec_b64 s[4:5], s[0:1]
	s_cbranch_execz .LBB22_54
; %bb.53:
	s_lshl_b64 s[0:1], s[2:3], 2
	s_waitcnt lgkmcnt(0)
	s_add_u32 s0, s22, s0
	s_addc_u32 s1, s23, s1
	v_mov_b32_e32 v0, 0
	global_store_dword v0, v35, s[0:1]
.LBB22_54:
	s_endpgm
	.section	.rodata,"a",@progbits
	.p2align	6, 0x0
	.amdhsa_kernel _ZN2at4cuda3cub15calc_block_sumsILi512ELi16ELb0EiiEEvPKT2_PT3_li
		.amdhsa_group_segment_fixed_size 32
		.amdhsa_private_segment_fixed_size 0
		.amdhsa_kernarg_size 28
		.amdhsa_user_sgpr_count 2
		.amdhsa_user_sgpr_dispatch_ptr 0
		.amdhsa_user_sgpr_queue_ptr 0
		.amdhsa_user_sgpr_kernarg_segment_ptr 1
		.amdhsa_user_sgpr_dispatch_id 0
		.amdhsa_user_sgpr_kernarg_preload_length 0
		.amdhsa_user_sgpr_kernarg_preload_offset 0
		.amdhsa_user_sgpr_private_segment_size 0
		.amdhsa_uses_dynamic_stack 0
		.amdhsa_enable_private_segment 0
		.amdhsa_system_sgpr_workgroup_id_x 1
		.amdhsa_system_sgpr_workgroup_id_y 0
		.amdhsa_system_sgpr_workgroup_id_z 0
		.amdhsa_system_sgpr_workgroup_info 0
		.amdhsa_system_vgpr_workitem_id 0
		.amdhsa_next_free_vgpr 47
		.amdhsa_next_free_sgpr 31
		.amdhsa_accum_offset 48
		.amdhsa_reserve_vcc 1
		.amdhsa_float_round_mode_32 0
		.amdhsa_float_round_mode_16_64 0
		.amdhsa_float_denorm_mode_32 3
		.amdhsa_float_denorm_mode_16_64 3
		.amdhsa_dx10_clamp 1
		.amdhsa_ieee_mode 1
		.amdhsa_fp16_overflow 0
		.amdhsa_tg_split 0
		.amdhsa_exception_fp_ieee_invalid_op 0
		.amdhsa_exception_fp_denorm_src 0
		.amdhsa_exception_fp_ieee_div_zero 0
		.amdhsa_exception_fp_ieee_overflow 0
		.amdhsa_exception_fp_ieee_underflow 0
		.amdhsa_exception_fp_ieee_inexact 0
		.amdhsa_exception_int_div_zero 0
	.end_amdhsa_kernel
	.section	.text._ZN2at4cuda3cub15calc_block_sumsILi512ELi16ELb0EiiEEvPKT2_PT3_li,"axG",@progbits,_ZN2at4cuda3cub15calc_block_sumsILi512ELi16ELb0EiiEEvPKT2_PT3_li,comdat
.Lfunc_end22:
	.size	_ZN2at4cuda3cub15calc_block_sumsILi512ELi16ELb0EiiEEvPKT2_PT3_li, .Lfunc_end22-_ZN2at4cuda3cub15calc_block_sumsILi512ELi16ELb0EiiEEvPKT2_PT3_li
                                        ; -- End function
	.section	.AMDGPU.csdata,"",@progbits
; Kernel info:
; codeLenInByte = 2500
; NumSgprs: 37
; NumVgprs: 47
; NumAgprs: 0
; TotalNumVgprs: 47
; ScratchSize: 0
; MemoryBound: 0
; FloatMode: 240
; IeeeMode: 1
; LDSByteSize: 32 bytes/workgroup (compile time only)
; SGPRBlocks: 4
; VGPRBlocks: 5
; NumSGPRsForWavesPerEU: 37
; NumVGPRsForWavesPerEU: 47
; AccumOffset: 48
; Occupancy: 8
; WaveLimiterHint : 1
; COMPUTE_PGM_RSRC2:SCRATCH_EN: 0
; COMPUTE_PGM_RSRC2:USER_SGPR: 2
; COMPUTE_PGM_RSRC2:TRAP_HANDLER: 0
; COMPUTE_PGM_RSRC2:TGID_X_EN: 1
; COMPUTE_PGM_RSRC2:TGID_Y_EN: 0
; COMPUTE_PGM_RSRC2:TGID_Z_EN: 0
; COMPUTE_PGM_RSRC2:TIDIG_COMP_CNT: 0
; COMPUTE_PGM_RSRC3_GFX90A:ACCUM_OFFSET: 11
; COMPUTE_PGM_RSRC3_GFX90A:TG_SPLIT: 0
	.section	.text._ZN2at4cuda3cub17final_scan_kernelILi512ELi16EiEEvPKT1_PS3_S6_li,"axG",@progbits,_ZN2at4cuda3cub17final_scan_kernelILi512ELi16EiEEvPKT1_PS3_S6_li,comdat
	.protected	_ZN2at4cuda3cub17final_scan_kernelILi512ELi16EiEEvPKT1_PS3_S6_li ; -- Begin function _ZN2at4cuda3cub17final_scan_kernelILi512ELi16EiEEvPKT1_PS3_S6_li
	.globl	_ZN2at4cuda3cub17final_scan_kernelILi512ELi16EiEEvPKT1_PS3_S6_li
	.p2align	8
	.type	_ZN2at4cuda3cub17final_scan_kernelILi512ELi16EiEEvPKT1_PS3_S6_li,@function
_ZN2at4cuda3cub17final_scan_kernelILi512ELi16EiEEvPKT1_PS3_S6_li: ; @_ZN2at4cuda3cub17final_scan_kernelILi512ELi16EiEEvPKT1_PS3_S6_li
; %bb.0:
	s_load_dword s33, s[0:1], 0x20
	s_load_dwordx8 s[40:47], s[0:1], 0x0
	s_waitcnt lgkmcnt(0)
	s_lshl_b32 s3, s33, 13
	s_ashr_i32 s4, s3, 31
	s_mul_hi_u32 s5, s3, s2
	s_mul_i32 s4, s4, s2
	s_add_i32 s31, s5, s4
	s_mul_i32 s30, s3, s2
	s_sub_u32 s34, s46, s30
	s_subb_u32 s35, s47, s31
	v_cmp_lt_i64_e64 s[4:5], s[34:35], 1
	s_and_b64 vcc, exec, s[4:5]
	s_cbranch_vccnz .LBB23_98
; %bb.1:
	v_cmp_gt_u32_e32 vcc, s2, v0
	v_mov_b32_e32 v4, 0
	v_lshlrev_b32_e32 v30, 2, v0
	s_and_saveexec_b64 s[4:5], vcc
	s_cbranch_execz .LBB23_3
; %bb.2:
	global_load_dword v4, v30, s[44:45]
.LBB23_3:
	s_or_b64 exec, exec, s[4:5]
	s_load_dword s0, s[0:1], 0x34
	s_waitcnt lgkmcnt(0)
	s_and_b32 s3, s0, 0xffff
	v_add_u32_e32 v2, s3, v0
	v_cmp_gt_u32_e32 vcc, s2, v2
	s_and_saveexec_b64 s[0:1], vcc
	s_cbranch_execz .LBB23_7
; %bb.4:
	s_mov_b64 s[4:5], 0
	v_mov_b32_e32 v3, 0
.LBB23_5:                               ; =>This Inner Loop Header: Depth=1
	v_lshl_add_u64 v[6:7], v[2:3], 2, s[44:45]
	global_load_dword v1, v[6:7], off
	v_add_u32_e32 v2, s3, v2
	v_cmp_le_u32_e32 vcc, s2, v2
	s_or_b64 s[4:5], vcc, s[4:5]
	s_waitcnt vmcnt(0)
	v_add_u32_e32 v4, v1, v4
	s_andn2_b64 exec, exec, s[4:5]
	s_cbranch_execnz .LBB23_5
; %bb.6:
	s_or_b64 exec, exec, s[4:5]
.LBB23_7:
	s_or_b64 exec, exec, s[0:1]
	s_waitcnt vmcnt(0)
	v_mov_b32_dpp v2, v4 quad_perm:[1,0,3,2] row_mask:0xf bank_mask:0xf
	v_add_u32_e32 v2, v2, v4
	v_mbcnt_lo_u32_b32 v1, -1, 0
	v_mbcnt_hi_u32_b32 v1, -1, v1
	v_mov_b32_dpp v3, v2 quad_perm:[2,3,0,1] row_mask:0xf bank_mask:0xf
	v_add_u32_e32 v2, v2, v3
	v_cmp_eq_u32_e64 s[0:1], 0, v1
	s_nop 0
	v_mov_b32_dpp v3, v2 row_ror:4 row_mask:0xf bank_mask:0xf
	v_add_u32_e32 v2, v2, v3
	s_nop 1
	v_mov_b32_dpp v3, v2 row_ror:8 row_mask:0xf bank_mask:0xf
	v_add_u32_e32 v2, v2, v3
	s_nop 1
	v_mov_b32_dpp v3, v2 row_bcast:15 row_mask:0xf bank_mask:0xf
	v_add_u32_e32 v2, v2, v3
	s_nop 1
	v_mov_b32_dpp v3, v2 row_bcast:31 row_mask:0xf bank_mask:0xf
	v_add_u32_e32 v2, v2, v3
	v_bfrev_b32_e32 v3, 0.5
	v_lshl_or_b32 v3, v1, 2, v3
	ds_bpermute_b32 v31, v3, v2
	s_and_saveexec_b64 s[2:3], s[0:1]
	s_cbranch_execz .LBB23_9
; %bb.8:
	v_lshrrev_b32_e32 v2, 4, v0
	v_and_b32_e32 v2, 60, v2
	s_waitcnt lgkmcnt(0)
	ds_write_b32 v2, v31
.LBB23_9:
	s_or_b64 exec, exec, s[2:3]
	v_cmp_lt_u32_e64 s[2:3], 63, v0
	v_cmp_gt_u32_e64 s[4:5], 64, v0
	v_and_b32_e32 v2, 7, v1
	s_waitcnt lgkmcnt(0)
	s_barrier
	s_and_saveexec_b64 s[6:7], s[4:5]
	s_cbranch_execz .LBB23_11
; %bb.10:
	v_lshlrev_b32_e32 v3, 2, v2
	ds_read_b32 v3, v3
	v_cmp_ne_u32_e32 vcc, 7, v2
	s_nop 1
	v_addc_co_u32_e32 v4, vcc, 0, v1, vcc
	v_lshlrev_b32_e32 v4, 2, v4
	s_waitcnt lgkmcnt(0)
	ds_bpermute_b32 v4, v4, v3
	v_cmp_gt_u32_e32 vcc, 6, v2
	s_waitcnt lgkmcnt(0)
	v_add_u32_e32 v3, v4, v3
	v_cndmask_b32_e64 v5, 0, 1, vcc
	v_lshlrev_b32_e32 v5, 1, v5
	v_add_lshl_u32 v5, v5, v1, 2
	ds_bpermute_b32 v4, v5, v3
	v_cmp_gt_u32_e32 vcc, 4, v2
	s_waitcnt lgkmcnt(0)
	v_add_u32_e32 v3, v4, v3
	v_cndmask_b32_e64 v5, 0, 1, vcc
	v_lshlrev_b32_e32 v5, 2, v5
	v_add_lshl_u32 v4, v5, v1, 2
	ds_bpermute_b32 v4, v4, v3
	s_waitcnt lgkmcnt(0)
	v_add_u32_e32 v31, v4, v3
.LBB23_11:
	s_or_b64 exec, exec, s[6:7]
	s_cmp_lt_i32 s33, 1
	s_barrier
	s_cbranch_scc1 .LBB23_98
; %bb.12:
	v_lshlrev_b32_e32 v3, 4, v0
	s_movk_i32 s6, 0x3c00
	v_and_or_b32 v32, v3, s6, v1
	v_add_u32_e32 v33, 64, v32
	v_lshrrev_b32_e32 v3, 5, v32
	v_or_b32_e32 v34, 0x80, v32
	v_add_lshl_u32 v48, v3, v32, 2
	v_lshrrev_b32_e32 v3, 5, v33
	v_add_u32_e32 v35, 0xc0, v32
	v_add_lshl_u32 v49, v3, v33, 2
	v_lshrrev_b32_e32 v3, 5, v34
	v_or_b32_e32 v36, 0x100, v32
	v_add_lshl_u32 v50, v3, v34, 2
	v_lshrrev_b32_e32 v3, 5, v35
	v_add_u32_e32 v37, 0x140, v32
	v_add_lshl_u32 v51, v3, v35, 2
	;; [unrolled: 6-line block ×7, first 2 shown]
	v_lshrrev_b32_e32 v3, 5, v46
	v_add_lshl_u32 v62, v3, v46, 2
	v_lshrrev_b32_e32 v3, 5, v47
	v_add_lshl_u32 v63, v3, v47, 2
	v_and_b32_e32 v3, 0x3c0, v0
	v_add_u32_e32 v4, v1, v3
	v_lshlrev_b32_e32 v5, 4, v4
	v_bfe_u32 v4, v4, 1, 27
	v_min_u32_e32 v3, 0x1c0, v3
	v_add_lshl_u32 v64, v4, v5, 2
	v_and_b32_e32 v4, 15, v1
	v_or_b32_e32 v3, 63, v3
	v_cmp_eq_u32_e64 s[6:7], 0, v4
	v_cmp_lt_u32_e64 s[8:9], 1, v4
	v_cmp_lt_u32_e64 s[10:11], 3, v4
	;; [unrolled: 1-line block ×3, first 2 shown]
	v_and_b32_e32 v4, 16, v1
	v_cmp_eq_u32_e64 s[18:19], v3, v0
	v_cmp_eq_u32_e64 s[22:23], 0, v2
	v_cmp_lt_u32_e64 s[24:25], 1, v2
	v_cmp_lt_u32_e64 s[26:27], 3, v2
	v_add_u32_e32 v2, -1, v1
	v_and_b32_e32 v3, 64, v1
	v_cmp_eq_u32_e64 s[14:15], 0, v4
	v_lshrrev_b32_e32 v4, 6, v0
	v_cmp_lt_i32_e32 vcc, v2, v3
	v_cmp_lt_u32_e64 s[16:17], 31, v1
	v_cmp_gt_u32_e64 s[20:21], 8, v0
	v_cndmask_b32_e32 v2, v2, v1, vcc
	v_cmp_eq_u32_e64 s[28:29], 0, v0
	v_lshlrev_b32_e32 v18, 2, v1
	v_mov_b32_e32 v1, 0
	v_lshlrev_b32_e32 v0, 12, v4
	v_lshlrev_b32_e32 v67, 2, v2
	v_lshl_add_u64 v[2:3], s[30:31], 2, v[0:1]
	v_lshlrev_b32_e32 v65, 2, v4
	v_lshl_add_u64 v[4:5], v[2:3], 0, s[42:43]
	s_mov_b64 s[30:31], 0xf00
	s_mov_b32 s36, 0
	v_add_u32_e32 v66, -4, v65
	v_mov_b32_e32 v19, v1
	v_lshl_add_u64 v[24:25], v[4:5], 0, s[30:31]
	v_lshl_add_u64 v[26:27], s[40:41], 0, v[2:3]
	v_mov_b64_e32 v[20:21], 0x2000
	v_mov_b64_e32 v[22:23], 0x1fff
	s_mov_b64 s[52:53], 0x8000
	s_branch .LBB23_14
.LBB23_13:                              ;   in Loop: Header=BB23_14 Depth=1
	s_add_u32 s34, s34, 0xffffe000
	s_addc_u32 s35, s35, -1
	s_add_i32 s33, s33, -1
	s_cmp_eq_u32 s33, 0
	v_lshl_add_u64 v[24:25], v[24:25], 0, s[52:53]
	v_lshl_add_u64 v[26:27], v[26:27], 0, s[52:53]
	s_cselect_b64 s[30:31], -1, 0
	s_waitcnt lgkmcnt(0)
	s_barrier
	s_andn2_b64 vcc, exec, s[30:31]
	s_cbranch_vccz .LBB23_98
.LBB23_14:                              ; =>This Inner Loop Header: Depth=1
	v_cmp_gt_i64_e32 vcc, s[34:35], v[22:23]
	s_mov_b64 s[38:39], -1
	v_cmp_gt_u32_e64 s[30:31], s34, v32
	s_cbranch_vccnz .LBB23_33
; %bb.15:                               ;   in Loop: Header=BB23_14 Depth=1
	s_mov_b32 s37, s36
	s_mov_b32 s38, s36
	;; [unrolled: 1-line block ×15, first 2 shown]
	v_mov_b64_e32 v[2:3], s[36:37]
	s_waitcnt lgkmcnt(0)
	v_lshl_add_u64 v[28:29], v[26:27], 0, v[18:19]
	v_mov_b64_e32 v[4:5], s[38:39]
	v_mov_b64_e32 v[6:7], s[40:41]
	;; [unrolled: 1-line block ×7, first 2 shown]
	s_and_saveexec_b64 s[38:39], s[30:31]
	s_cbranch_execnz .LBB23_83
; %bb.16:                               ;   in Loop: Header=BB23_14 Depth=1
	s_or_b64 exec, exec, s[38:39]
	v_cmp_gt_u32_e32 vcc, s34, v33
	s_and_saveexec_b64 s[30:31], vcc
	s_cbranch_execnz .LBB23_84
.LBB23_17:                              ;   in Loop: Header=BB23_14 Depth=1
	s_or_b64 exec, exec, s[30:31]
	v_cmp_gt_u32_e32 vcc, s34, v34
	s_and_saveexec_b64 s[30:31], vcc
	s_cbranch_execnz .LBB23_85
.LBB23_18:                              ;   in Loop: Header=BB23_14 Depth=1
	s_or_b64 exec, exec, s[30:31]
	v_cmp_gt_u32_e32 vcc, s34, v35
	s_and_saveexec_b64 s[30:31], vcc
	s_cbranch_execnz .LBB23_86
.LBB23_19:                              ;   in Loop: Header=BB23_14 Depth=1
	s_or_b64 exec, exec, s[30:31]
	v_cmp_gt_u32_e32 vcc, s34, v36
	s_and_saveexec_b64 s[30:31], vcc
	s_cbranch_execnz .LBB23_87
.LBB23_20:                              ;   in Loop: Header=BB23_14 Depth=1
	s_or_b64 exec, exec, s[30:31]
	v_cmp_gt_u32_e32 vcc, s34, v37
	s_and_saveexec_b64 s[30:31], vcc
	s_cbranch_execnz .LBB23_88
.LBB23_21:                              ;   in Loop: Header=BB23_14 Depth=1
	s_or_b64 exec, exec, s[30:31]
	v_cmp_gt_u32_e32 vcc, s34, v38
	s_and_saveexec_b64 s[30:31], vcc
	s_cbranch_execnz .LBB23_89
.LBB23_22:                              ;   in Loop: Header=BB23_14 Depth=1
	s_or_b64 exec, exec, s[30:31]
	v_cmp_gt_u32_e32 vcc, s34, v39
	s_and_saveexec_b64 s[30:31], vcc
	s_cbranch_execnz .LBB23_90
.LBB23_23:                              ;   in Loop: Header=BB23_14 Depth=1
	s_or_b64 exec, exec, s[30:31]
	v_cmp_gt_u32_e32 vcc, s34, v40
	s_and_saveexec_b64 s[30:31], vcc
	s_cbranch_execnz .LBB23_91
.LBB23_24:                              ;   in Loop: Header=BB23_14 Depth=1
	s_or_b64 exec, exec, s[30:31]
	v_cmp_gt_u32_e32 vcc, s34, v41
	s_and_saveexec_b64 s[30:31], vcc
	s_cbranch_execnz .LBB23_92
.LBB23_25:                              ;   in Loop: Header=BB23_14 Depth=1
	s_or_b64 exec, exec, s[30:31]
	v_cmp_gt_u32_e32 vcc, s34, v42
	s_and_saveexec_b64 s[30:31], vcc
	s_cbranch_execnz .LBB23_93
.LBB23_26:                              ;   in Loop: Header=BB23_14 Depth=1
	s_or_b64 exec, exec, s[30:31]
	v_cmp_gt_u32_e32 vcc, s34, v43
	s_and_saveexec_b64 s[30:31], vcc
	s_cbranch_execnz .LBB23_94
.LBB23_27:                              ;   in Loop: Header=BB23_14 Depth=1
	s_or_b64 exec, exec, s[30:31]
	v_cmp_gt_u32_e32 vcc, s34, v44
	s_and_saveexec_b64 s[30:31], vcc
	s_cbranch_execnz .LBB23_95
.LBB23_28:                              ;   in Loop: Header=BB23_14 Depth=1
	s_or_b64 exec, exec, s[30:31]
	v_cmp_gt_u32_e32 vcc, s34, v45
	s_and_saveexec_b64 s[30:31], vcc
	s_cbranch_execnz .LBB23_96
.LBB23_29:                              ;   in Loop: Header=BB23_14 Depth=1
	s_or_b64 exec, exec, s[30:31]
	v_cmp_gt_u32_e32 vcc, s34, v46
	s_and_saveexec_b64 s[30:31], vcc
	s_cbranch_execnz .LBB23_97
.LBB23_30:                              ;   in Loop: Header=BB23_14 Depth=1
	s_or_b64 exec, exec, s[30:31]
	v_cmp_gt_u32_e32 vcc, s34, v47
	s_and_saveexec_b64 s[30:31], vcc
	s_cbranch_execz .LBB23_32
.LBB23_31:                              ;   in Loop: Header=BB23_14 Depth=1
	global_load_dword v17, v[28:29], off offset:3840
.LBB23_32:                              ;   in Loop: Header=BB23_14 Depth=1
	s_or_b64 exec, exec, s[30:31]
	s_mov_b64 s[38:39], 0
	ds_write_b32 v48, v2
	s_waitcnt vmcnt(0)
	ds_write_b32 v49, v3
	ds_write_b32 v50, v4
	;; [unrolled: 1-line block ×15, first 2 shown]
	; wave barrier
.LBB23_33:                              ;   in Loop: Header=BB23_14 Depth=1
	s_and_b64 vcc, exec, s[38:39]
	s_cbranch_vccz .LBB23_35
; %bb.34:                               ;   in Loop: Header=BB23_14 Depth=1
	v_lshl_add_u64 v[2:3], v[26:27], 0, v[18:19]
	global_load_dword v0, v[2:3], off
	global_load_dword v4, v[2:3], off offset:256
	global_load_dword v5, v[2:3], off offset:512
	;; [unrolled: 1-line block ×14, first 2 shown]
	s_nop 0
	global_load_dword v2, v[2:3], off offset:3840
	s_waitcnt vmcnt(15)
	ds_write_b32 v48, v0
	s_waitcnt vmcnt(14)
	ds_write_b32 v49, v4
	;; [unrolled: 2-line block ×16, first 2 shown]
	; wave barrier
.LBB23_35:                              ;   in Loop: Header=BB23_14 Depth=1
	ds_read2_b32 v[16:17], v64 offset1:1
	ds_read2_b32 v[14:15], v64 offset0:2 offset1:3
	ds_read2_b32 v[12:13], v64 offset0:4 offset1:5
	;; [unrolled: 1-line block ×7, first 2 shown]
	s_waitcnt lgkmcnt(7)
	v_add_u32_e32 v0, v17, v16
	s_waitcnt lgkmcnt(6)
	v_add3_u32 v0, v0, v14, v15
	s_waitcnt lgkmcnt(5)
	v_add3_u32 v0, v0, v12, v13
	;; [unrolled: 2-line block ×7, first 2 shown]
	s_barrier
	s_nop 0
	v_mov_b32_dpp v28, v0 row_shr:1 row_mask:0xf bank_mask:0xf
	v_cndmask_b32_e64 v28, v28, 0, s[6:7]
	v_add_u32_e32 v0, v0, v28
	s_nop 1
	v_mov_b32_dpp v28, v0 row_shr:2 row_mask:0xf bank_mask:0xf
	v_cndmask_b32_e64 v28, 0, v28, s[8:9]
	v_add_u32_e32 v0, v0, v28
	;; [unrolled: 4-line block ×4, first 2 shown]
	s_nop 1
	v_mov_b32_dpp v28, v0 row_bcast:15 row_mask:0xf bank_mask:0xf
	v_cndmask_b32_e64 v28, v28, 0, s[14:15]
	v_add_u32_e32 v0, v0, v28
	s_nop 1
	v_mov_b32_dpp v28, v0 row_bcast:31 row_mask:0xf bank_mask:0xf
	v_cndmask_b32_e64 v28, 0, v28, s[16:17]
	v_add_u32_e32 v0, v0, v28
	s_and_saveexec_b64 s[30:31], s[18:19]
	s_cbranch_execz .LBB23_37
; %bb.36:                               ;   in Loop: Header=BB23_14 Depth=1
	ds_write_b32 v65, v0
.LBB23_37:                              ;   in Loop: Header=BB23_14 Depth=1
	s_or_b64 exec, exec, s[30:31]
	s_waitcnt lgkmcnt(0)
	s_barrier
	s_and_saveexec_b64 s[30:31], s[20:21]
	s_cbranch_execz .LBB23_39
; %bb.38:                               ;   in Loop: Header=BB23_14 Depth=1
	ds_read_b32 v28, v30
	s_waitcnt lgkmcnt(0)
	s_nop 0
	v_mov_b32_dpp v29, v28 row_shr:1 row_mask:0xf bank_mask:0xf
	v_cndmask_b32_e64 v29, v29, 0, s[22:23]
	v_add_u32_e32 v28, v29, v28
	s_nop 1
	v_mov_b32_dpp v29, v28 row_shr:2 row_mask:0xf bank_mask:0xf
	v_cndmask_b32_e64 v29, 0, v29, s[24:25]
	v_add_u32_e32 v28, v28, v29
	;; [unrolled: 4-line block ×3, first 2 shown]
	ds_write_b32 v30, v28
.LBB23_39:                              ;   in Loop: Header=BB23_14 Depth=1
	s_or_b64 exec, exec, s[30:31]
	s_waitcnt lgkmcnt(0)
	s_barrier
	s_waitcnt lgkmcnt(0)
                                        ; implicit-def: $vgpr28
	s_and_saveexec_b64 s[30:31], s[2:3]
	s_cbranch_execz .LBB23_41
; %bb.40:                               ;   in Loop: Header=BB23_14 Depth=1
	ds_read_b32 v28, v66
	s_waitcnt lgkmcnt(0)
	v_add_u32_e32 v0, v28, v0
.LBB23_41:                              ;   in Loop: Header=BB23_14 Depth=1
	s_or_b64 exec, exec, s[30:31]
	ds_bpermute_b32 v0, v67, v0
	s_and_saveexec_b64 s[30:31], s[4:5]
	s_cbranch_execz .LBB23_45
; %bb.42:                               ;   in Loop: Header=BB23_14 Depth=1
	ds_read_b32 v29, v1 offset:28
	s_and_saveexec_b64 s[38:39], s[28:29]
	s_cbranch_execz .LBB23_44
; %bb.43:                               ;   in Loop: Header=BB23_14 Depth=1
	ds_write_b32 v1, v31 offset:28
.LBB23_44:                              ;   in Loop: Header=BB23_14 Depth=1
	s_or_b64 exec, exec, s[38:39]
	s_waitcnt lgkmcnt(0)
	v_add_u32_e32 v31, v29, v31
.LBB23_45:                              ;   in Loop: Header=BB23_14 Depth=1
	s_or_b64 exec, exec, s[30:31]
	s_waitcnt lgkmcnt(0)
	s_barrier
	ds_read_b32 v29, v1 offset:28
	v_cndmask_b32_e64 v0, v0, v28, s[0:1]
	v_cndmask_b32_e64 v0, v0, 0, s[28:29]
	v_cmp_lt_i64_e32 vcc, s[34:35], v[20:21]
	s_and_b64 vcc, exec, vcc
	s_waitcnt lgkmcnt(0)
	v_add3_u32 v0, v0, v16, v29
	v_add_u32_e32 v16, v0, v17
	v_add_u32_e32 v14, v16, v14
	;; [unrolled: 1-line block ×15, first 2 shown]
	v_lshl_add_u64 v[2:3], v[24:25], 0, v[18:19]
	s_barrier
	s_cbranch_vccz .LBB23_68
; %bb.46:                               ;   in Loop: Header=BB23_14 Depth=1
	ds_write2_b32 v64, v0, v16 offset1:1
	ds_write2_b32 v64, v14, v15 offset0:2 offset1:3
	ds_write2_b32 v64, v12, v13 offset0:4 offset1:5
	;; [unrolled: 1-line block ×7, first 2 shown]
	; wave barrier
	ds_read_b32 v82, v48
	ds_read_b32 v81, v49
	;; [unrolled: 1-line block ×16, first 2 shown]
	v_cmp_gt_u32_e32 vcc, s34, v32
	s_and_saveexec_b64 s[30:31], vcc
	s_cbranch_execnz .LBB23_69
; %bb.47:                               ;   in Loop: Header=BB23_14 Depth=1
	s_or_b64 exec, exec, s[30:31]
	v_cmp_gt_u32_e32 vcc, s34, v33
	s_and_saveexec_b64 s[30:31], vcc
	s_cbranch_execnz .LBB23_70
.LBB23_48:                              ;   in Loop: Header=BB23_14 Depth=1
	s_or_b64 exec, exec, s[30:31]
	v_cmp_gt_u32_e32 vcc, s34, v34
	s_and_saveexec_b64 s[30:31], vcc
	s_cbranch_execnz .LBB23_71
.LBB23_49:                              ;   in Loop: Header=BB23_14 Depth=1
	s_or_b64 exec, exec, s[30:31]
	v_cmp_gt_u32_e32 vcc, s34, v35
	s_and_saveexec_b64 s[30:31], vcc
	s_cbranch_execnz .LBB23_72
.LBB23_50:                              ;   in Loop: Header=BB23_14 Depth=1
	s_or_b64 exec, exec, s[30:31]
	v_cmp_gt_u32_e32 vcc, s34, v36
	s_and_saveexec_b64 s[30:31], vcc
	s_cbranch_execnz .LBB23_73
.LBB23_51:                              ;   in Loop: Header=BB23_14 Depth=1
	s_or_b64 exec, exec, s[30:31]
	v_cmp_gt_u32_e32 vcc, s34, v37
	s_and_saveexec_b64 s[30:31], vcc
	s_cbranch_execnz .LBB23_74
.LBB23_52:                              ;   in Loop: Header=BB23_14 Depth=1
	s_or_b64 exec, exec, s[30:31]
	v_cmp_gt_u32_e32 vcc, s34, v38
	s_and_saveexec_b64 s[30:31], vcc
	s_cbranch_execnz .LBB23_75
.LBB23_53:                              ;   in Loop: Header=BB23_14 Depth=1
	s_or_b64 exec, exec, s[30:31]
	v_cmp_gt_u32_e32 vcc, s34, v39
	s_and_saveexec_b64 s[30:31], vcc
	s_cbranch_execnz .LBB23_76
.LBB23_54:                              ;   in Loop: Header=BB23_14 Depth=1
	s_or_b64 exec, exec, s[30:31]
	v_cmp_gt_u32_e32 vcc, s34, v40
	s_and_saveexec_b64 s[30:31], vcc
	s_cbranch_execnz .LBB23_77
.LBB23_55:                              ;   in Loop: Header=BB23_14 Depth=1
	s_or_b64 exec, exec, s[30:31]
	v_cmp_gt_u32_e32 vcc, s34, v41
	s_and_saveexec_b64 s[30:31], vcc
	s_cbranch_execnz .LBB23_78
.LBB23_56:                              ;   in Loop: Header=BB23_14 Depth=1
	s_or_b64 exec, exec, s[30:31]
	v_cmp_gt_u32_e32 vcc, s34, v42
	s_and_saveexec_b64 s[30:31], vcc
	s_cbranch_execnz .LBB23_79
.LBB23_57:                              ;   in Loop: Header=BB23_14 Depth=1
	s_or_b64 exec, exec, s[30:31]
	v_cmp_gt_u32_e32 vcc, s34, v43
	s_and_saveexec_b64 s[30:31], vcc
	s_cbranch_execnz .LBB23_80
.LBB23_58:                              ;   in Loop: Header=BB23_14 Depth=1
	s_or_b64 exec, exec, s[30:31]
	v_cmp_gt_u32_e32 vcc, s34, v44
	s_and_saveexec_b64 s[30:31], vcc
	s_cbranch_execnz .LBB23_81
.LBB23_59:                              ;   in Loop: Header=BB23_14 Depth=1
	s_or_b64 exec, exec, s[30:31]
	v_cmp_gt_u32_e32 vcc, s34, v45
	s_and_saveexec_b64 s[30:31], vcc
	s_cbranch_execnz .LBB23_82
.LBB23_60:                              ;   in Loop: Header=BB23_14 Depth=1
	s_or_b64 exec, exec, s[30:31]
	v_cmp_gt_u32_e32 vcc, s34, v46
	s_and_saveexec_b64 s[30:31], vcc
	s_cbranch_execz .LBB23_62
.LBB23_61:                              ;   in Loop: Header=BB23_14 Depth=1
	s_waitcnt lgkmcnt(1)
	global_store_dword v[2:3], v68, off offset:-256
.LBB23_62:                              ;   in Loop: Header=BB23_14 Depth=1
	s_or_b64 exec, exec, s[30:31]
	v_cmp_gt_u32_e64 s[30:31], s34, v47
	s_branch .LBB23_64
.LBB23_63:                              ;   in Loop: Header=BB23_14 Depth=1
	ds_write2_b32 v64, v0, v16 offset1:1
	ds_write2_b32 v64, v14, v15 offset0:2 offset1:3
	ds_write2_b32 v64, v12, v13 offset0:4 offset1:5
	;; [unrolled: 1-line block ×7, first 2 shown]
	; wave barrier
	ds_read_b32 v0, v48
	ds_read_b32 v4, v49
	;; [unrolled: 1-line block ×15, first 2 shown]
	s_waitcnt lgkmcnt(14)
	ds_read_b32 v29, v63
	s_or_b64 s[30:31], s[30:31], exec
	global_store_dword v[2:3], v0, off offset:-3840
	s_waitcnt lgkmcnt(14)
	global_store_dword v[2:3], v4, off offset:-3584
	s_waitcnt lgkmcnt(13)
	;; [unrolled: 2-line block ×14, first 2 shown]
	global_store_dword v[2:3], v17, off offset:-256
.LBB23_64:                              ;   in Loop: Header=BB23_14 Depth=1
	s_and_saveexec_b64 s[38:39], s[30:31]
	s_cbranch_execz .LBB23_66
; %bb.65:                               ;   in Loop: Header=BB23_14 Depth=1
	s_waitcnt lgkmcnt(0)
	global_store_dword v[2:3], v29, off
.LBB23_66:                              ;   in Loop: Header=BB23_14 Depth=1
	s_or_b64 exec, exec, s[38:39]
	v_mov_b64_e32 v[2:3], 0x2001
	v_cmp_lt_i64_e32 vcc, s[34:35], v[2:3]
	s_cbranch_vccz .LBB23_13
; %bb.67:
                                        ; implicit-def: $vgpr31
                                        ; implicit-def: $sgpr34_sgpr35
                                        ; implicit-def: $sgpr33
                                        ; implicit-def: $vgpr24_vgpr25
                                        ; implicit-def: $vgpr26_vgpr27
	s_branch .LBB23_98
.LBB23_68:                              ;   in Loop: Header=BB23_14 Depth=1
	s_mov_b64 s[30:31], 0
                                        ; implicit-def: $vgpr29
	s_cbranch_execnz .LBB23_63
	s_branch .LBB23_64
.LBB23_69:                              ;   in Loop: Header=BB23_14 Depth=1
	s_waitcnt lgkmcnt(14)
	global_store_dword v[2:3], v82, off offset:-3840
	s_or_b64 exec, exec, s[30:31]
	v_cmp_gt_u32_e32 vcc, s34, v33
	s_and_saveexec_b64 s[30:31], vcc
	s_cbranch_execz .LBB23_48
.LBB23_70:                              ;   in Loop: Header=BB23_14 Depth=1
	s_waitcnt lgkmcnt(14)
	global_store_dword v[2:3], v81, off offset:-3584
	s_or_b64 exec, exec, s[30:31]
	v_cmp_gt_u32_e32 vcc, s34, v34
	s_and_saveexec_b64 s[30:31], vcc
	s_cbranch_execz .LBB23_49
.LBB23_71:                              ;   in Loop: Header=BB23_14 Depth=1
	s_waitcnt lgkmcnt(13)
	global_store_dword v[2:3], v80, off offset:-3328
	s_or_b64 exec, exec, s[30:31]
	v_cmp_gt_u32_e32 vcc, s34, v35
	s_and_saveexec_b64 s[30:31], vcc
	s_cbranch_execz .LBB23_50
.LBB23_72:                              ;   in Loop: Header=BB23_14 Depth=1
	s_waitcnt lgkmcnt(12)
	global_store_dword v[2:3], v79, off offset:-3072
	s_or_b64 exec, exec, s[30:31]
	v_cmp_gt_u32_e32 vcc, s34, v36
	s_and_saveexec_b64 s[30:31], vcc
	s_cbranch_execz .LBB23_51
.LBB23_73:                              ;   in Loop: Header=BB23_14 Depth=1
	s_waitcnt lgkmcnt(11)
	global_store_dword v[2:3], v78, off offset:-2816
	s_or_b64 exec, exec, s[30:31]
	v_cmp_gt_u32_e32 vcc, s34, v37
	s_and_saveexec_b64 s[30:31], vcc
	s_cbranch_execz .LBB23_52
.LBB23_74:                              ;   in Loop: Header=BB23_14 Depth=1
	s_waitcnt lgkmcnt(10)
	global_store_dword v[2:3], v77, off offset:-2560
	s_or_b64 exec, exec, s[30:31]
	v_cmp_gt_u32_e32 vcc, s34, v38
	s_and_saveexec_b64 s[30:31], vcc
	s_cbranch_execz .LBB23_53
.LBB23_75:                              ;   in Loop: Header=BB23_14 Depth=1
	s_waitcnt lgkmcnt(9)
	global_store_dword v[2:3], v76, off offset:-2304
	s_or_b64 exec, exec, s[30:31]
	v_cmp_gt_u32_e32 vcc, s34, v39
	s_and_saveexec_b64 s[30:31], vcc
	s_cbranch_execz .LBB23_54
.LBB23_76:                              ;   in Loop: Header=BB23_14 Depth=1
	s_waitcnt lgkmcnt(8)
	global_store_dword v[2:3], v75, off offset:-2048
	s_or_b64 exec, exec, s[30:31]
	v_cmp_gt_u32_e32 vcc, s34, v40
	s_and_saveexec_b64 s[30:31], vcc
	s_cbranch_execz .LBB23_55
.LBB23_77:                              ;   in Loop: Header=BB23_14 Depth=1
	s_waitcnt lgkmcnt(7)
	global_store_dword v[2:3], v74, off offset:-1792
	s_or_b64 exec, exec, s[30:31]
	v_cmp_gt_u32_e32 vcc, s34, v41
	s_and_saveexec_b64 s[30:31], vcc
	s_cbranch_execz .LBB23_56
.LBB23_78:                              ;   in Loop: Header=BB23_14 Depth=1
	s_waitcnt lgkmcnt(6)
	global_store_dword v[2:3], v73, off offset:-1536
	s_or_b64 exec, exec, s[30:31]
	v_cmp_gt_u32_e32 vcc, s34, v42
	s_and_saveexec_b64 s[30:31], vcc
	s_cbranch_execz .LBB23_57
.LBB23_79:                              ;   in Loop: Header=BB23_14 Depth=1
	s_waitcnt lgkmcnt(5)
	global_store_dword v[2:3], v72, off offset:-1280
	s_or_b64 exec, exec, s[30:31]
	v_cmp_gt_u32_e32 vcc, s34, v43
	s_and_saveexec_b64 s[30:31], vcc
	s_cbranch_execz .LBB23_58
.LBB23_80:                              ;   in Loop: Header=BB23_14 Depth=1
	s_waitcnt lgkmcnt(4)
	global_store_dword v[2:3], v71, off offset:-1024
	s_or_b64 exec, exec, s[30:31]
	v_cmp_gt_u32_e32 vcc, s34, v44
	s_and_saveexec_b64 s[30:31], vcc
	s_cbranch_execz .LBB23_59
.LBB23_81:                              ;   in Loop: Header=BB23_14 Depth=1
	s_waitcnt lgkmcnt(3)
	global_store_dword v[2:3], v70, off offset:-768
	s_or_b64 exec, exec, s[30:31]
	v_cmp_gt_u32_e32 vcc, s34, v45
	s_and_saveexec_b64 s[30:31], vcc
	s_cbranch_execz .LBB23_60
.LBB23_82:                              ;   in Loop: Header=BB23_14 Depth=1
	s_waitcnt lgkmcnt(2)
	global_store_dword v[2:3], v69, off offset:-512
	s_or_b64 exec, exec, s[30:31]
	v_cmp_gt_u32_e32 vcc, s34, v46
	s_and_saveexec_b64 s[30:31], vcc
	s_cbranch_execnz .LBB23_61
	s_branch .LBB23_62
.LBB23_83:                              ;   in Loop: Header=BB23_14 Depth=1
	global_load_dword v0, v[28:29], off
	v_mov_b32_e32 v2, v1
	v_mov_b32_e32 v3, v1
	;; [unrolled: 1-line block ×14, first 2 shown]
	s_waitcnt vmcnt(0)
	v_mov_b64_e32 v[16:17], v[14:15]
	v_mov_b64_e32 v[14:15], v[12:13]
	;; [unrolled: 1-line block ×8, first 2 shown]
	s_or_b64 exec, exec, s[38:39]
	v_cmp_gt_u32_e32 vcc, s34, v33
	s_and_saveexec_b64 s[30:31], vcc
	s_cbranch_execz .LBB23_17
.LBB23_84:                              ;   in Loop: Header=BB23_14 Depth=1
	global_load_dword v3, v[28:29], off offset:256
	s_or_b64 exec, exec, s[30:31]
	v_cmp_gt_u32_e32 vcc, s34, v34
	s_and_saveexec_b64 s[30:31], vcc
	s_cbranch_execz .LBB23_18
.LBB23_85:                              ;   in Loop: Header=BB23_14 Depth=1
	global_load_dword v4, v[28:29], off offset:512
	s_or_b64 exec, exec, s[30:31]
	v_cmp_gt_u32_e32 vcc, s34, v35
	s_and_saveexec_b64 s[30:31], vcc
	s_cbranch_execz .LBB23_19
.LBB23_86:                              ;   in Loop: Header=BB23_14 Depth=1
	global_load_dword v5, v[28:29], off offset:768
	s_or_b64 exec, exec, s[30:31]
	v_cmp_gt_u32_e32 vcc, s34, v36
	s_and_saveexec_b64 s[30:31], vcc
	s_cbranch_execz .LBB23_20
.LBB23_87:                              ;   in Loop: Header=BB23_14 Depth=1
	global_load_dword v6, v[28:29], off offset:1024
	s_or_b64 exec, exec, s[30:31]
	v_cmp_gt_u32_e32 vcc, s34, v37
	s_and_saveexec_b64 s[30:31], vcc
	s_cbranch_execz .LBB23_21
.LBB23_88:                              ;   in Loop: Header=BB23_14 Depth=1
	global_load_dword v7, v[28:29], off offset:1280
	s_or_b64 exec, exec, s[30:31]
	v_cmp_gt_u32_e32 vcc, s34, v38
	s_and_saveexec_b64 s[30:31], vcc
	s_cbranch_execz .LBB23_22
.LBB23_89:                              ;   in Loop: Header=BB23_14 Depth=1
	global_load_dword v8, v[28:29], off offset:1536
	s_or_b64 exec, exec, s[30:31]
	v_cmp_gt_u32_e32 vcc, s34, v39
	s_and_saveexec_b64 s[30:31], vcc
	s_cbranch_execz .LBB23_23
.LBB23_90:                              ;   in Loop: Header=BB23_14 Depth=1
	global_load_dword v9, v[28:29], off offset:1792
	s_or_b64 exec, exec, s[30:31]
	v_cmp_gt_u32_e32 vcc, s34, v40
	s_and_saveexec_b64 s[30:31], vcc
	s_cbranch_execz .LBB23_24
.LBB23_91:                              ;   in Loop: Header=BB23_14 Depth=1
	global_load_dword v10, v[28:29], off offset:2048
	s_or_b64 exec, exec, s[30:31]
	v_cmp_gt_u32_e32 vcc, s34, v41
	s_and_saveexec_b64 s[30:31], vcc
	s_cbranch_execz .LBB23_25
.LBB23_92:                              ;   in Loop: Header=BB23_14 Depth=1
	global_load_dword v11, v[28:29], off offset:2304
	s_or_b64 exec, exec, s[30:31]
	v_cmp_gt_u32_e32 vcc, s34, v42
	s_and_saveexec_b64 s[30:31], vcc
	s_cbranch_execz .LBB23_26
.LBB23_93:                              ;   in Loop: Header=BB23_14 Depth=1
	global_load_dword v12, v[28:29], off offset:2560
	s_or_b64 exec, exec, s[30:31]
	v_cmp_gt_u32_e32 vcc, s34, v43
	s_and_saveexec_b64 s[30:31], vcc
	s_cbranch_execz .LBB23_27
.LBB23_94:                              ;   in Loop: Header=BB23_14 Depth=1
	global_load_dword v13, v[28:29], off offset:2816
	s_or_b64 exec, exec, s[30:31]
	v_cmp_gt_u32_e32 vcc, s34, v44
	s_and_saveexec_b64 s[30:31], vcc
	s_cbranch_execz .LBB23_28
.LBB23_95:                              ;   in Loop: Header=BB23_14 Depth=1
	global_load_dword v14, v[28:29], off offset:3072
	s_or_b64 exec, exec, s[30:31]
	v_cmp_gt_u32_e32 vcc, s34, v45
	s_and_saveexec_b64 s[30:31], vcc
	s_cbranch_execz .LBB23_29
.LBB23_96:                              ;   in Loop: Header=BB23_14 Depth=1
	global_load_dword v15, v[28:29], off offset:3328
	s_or_b64 exec, exec, s[30:31]
	v_cmp_gt_u32_e32 vcc, s34, v46
	s_and_saveexec_b64 s[30:31], vcc
	s_cbranch_execz .LBB23_30
.LBB23_97:                              ;   in Loop: Header=BB23_14 Depth=1
	global_load_dword v16, v[28:29], off offset:3584
	s_or_b64 exec, exec, s[30:31]
	v_cmp_gt_u32_e32 vcc, s34, v47
	s_and_saveexec_b64 s[30:31], vcc
	s_cbranch_execnz .LBB23_31
	s_branch .LBB23_32
.LBB23_98:
	s_endpgm
	.section	.rodata,"a",@progbits
	.p2align	6, 0x0
	.amdhsa_kernel _ZN2at4cuda3cub17final_scan_kernelILi512ELi16EiEEvPKT1_PS3_S6_li
		.amdhsa_group_segment_fixed_size 33792
		.amdhsa_private_segment_fixed_size 0
		.amdhsa_kernarg_size 296
		.amdhsa_user_sgpr_count 2
		.amdhsa_user_sgpr_dispatch_ptr 0
		.amdhsa_user_sgpr_queue_ptr 0
		.amdhsa_user_sgpr_kernarg_segment_ptr 1
		.amdhsa_user_sgpr_dispatch_id 0
		.amdhsa_user_sgpr_kernarg_preload_length 0
		.amdhsa_user_sgpr_kernarg_preload_offset 0
		.amdhsa_user_sgpr_private_segment_size 0
		.amdhsa_uses_dynamic_stack 0
		.amdhsa_enable_private_segment 0
		.amdhsa_system_sgpr_workgroup_id_x 1
		.amdhsa_system_sgpr_workgroup_id_y 0
		.amdhsa_system_sgpr_workgroup_id_z 0
		.amdhsa_system_sgpr_workgroup_info 0
		.amdhsa_system_vgpr_workitem_id 0
		.amdhsa_next_free_vgpr 83
		.amdhsa_next_free_sgpr 54
		.amdhsa_accum_offset 84
		.amdhsa_reserve_vcc 1
		.amdhsa_float_round_mode_32 0
		.amdhsa_float_round_mode_16_64 0
		.amdhsa_float_denorm_mode_32 3
		.amdhsa_float_denorm_mode_16_64 3
		.amdhsa_dx10_clamp 1
		.amdhsa_ieee_mode 1
		.amdhsa_fp16_overflow 0
		.amdhsa_tg_split 0
		.amdhsa_exception_fp_ieee_invalid_op 0
		.amdhsa_exception_fp_denorm_src 0
		.amdhsa_exception_fp_ieee_div_zero 0
		.amdhsa_exception_fp_ieee_overflow 0
		.amdhsa_exception_fp_ieee_underflow 0
		.amdhsa_exception_fp_ieee_inexact 0
		.amdhsa_exception_int_div_zero 0
	.end_amdhsa_kernel
	.section	.text._ZN2at4cuda3cub17final_scan_kernelILi512ELi16EiEEvPKT1_PS3_S6_li,"axG",@progbits,_ZN2at4cuda3cub17final_scan_kernelILi512ELi16EiEEvPKT1_PS3_S6_li,comdat
.Lfunc_end23:
	.size	_ZN2at4cuda3cub17final_scan_kernelILi512ELi16EiEEvPKT1_PS3_S6_li, .Lfunc_end23-_ZN2at4cuda3cub17final_scan_kernelILi512ELi16EiEEvPKT1_PS3_S6_li
                                        ; -- End function
	.section	.AMDGPU.csdata,"",@progbits
; Kernel info:
; codeLenInByte = 4456
; NumSgprs: 60
; NumVgprs: 83
; NumAgprs: 0
; TotalNumVgprs: 83
; ScratchSize: 0
; MemoryBound: 0
; FloatMode: 240
; IeeeMode: 1
; LDSByteSize: 33792 bytes/workgroup (compile time only)
; SGPRBlocks: 7
; VGPRBlocks: 10
; NumSGPRsForWavesPerEU: 60
; NumVGPRsForWavesPerEU: 83
; AccumOffset: 84
; Occupancy: 4
; WaveLimiterHint : 1
; COMPUTE_PGM_RSRC2:SCRATCH_EN: 0
; COMPUTE_PGM_RSRC2:USER_SGPR: 2
; COMPUTE_PGM_RSRC2:TRAP_HANDLER: 0
; COMPUTE_PGM_RSRC2:TGID_X_EN: 1
; COMPUTE_PGM_RSRC2:TGID_Y_EN: 0
; COMPUTE_PGM_RSRC2:TGID_Z_EN: 0
; COMPUTE_PGM_RSRC2:TIDIG_COMP_CNT: 0
; COMPUTE_PGM_RSRC3_GFX90A:ACCUM_OFFSET: 20
; COMPUTE_PGM_RSRC3_GFX90A:TG_SPLIT: 0
	.section	.text._ZN7rocprim17ROCPRIM_304000_NS6detail31init_lookback_scan_state_kernelINS1_19lookback_scan_stateIiLb1ELb1EEEEEvT_jjPNS5_10value_typeE,"axG",@progbits,_ZN7rocprim17ROCPRIM_304000_NS6detail31init_lookback_scan_state_kernelINS1_19lookback_scan_stateIiLb1ELb1EEEEEvT_jjPNS5_10value_typeE,comdat
	.protected	_ZN7rocprim17ROCPRIM_304000_NS6detail31init_lookback_scan_state_kernelINS1_19lookback_scan_stateIiLb1ELb1EEEEEvT_jjPNS5_10value_typeE ; -- Begin function _ZN7rocprim17ROCPRIM_304000_NS6detail31init_lookback_scan_state_kernelINS1_19lookback_scan_stateIiLb1ELb1EEEEEvT_jjPNS5_10value_typeE
	.globl	_ZN7rocprim17ROCPRIM_304000_NS6detail31init_lookback_scan_state_kernelINS1_19lookback_scan_stateIiLb1ELb1EEEEEvT_jjPNS5_10value_typeE
	.p2align	8
	.type	_ZN7rocprim17ROCPRIM_304000_NS6detail31init_lookback_scan_state_kernelINS1_19lookback_scan_stateIiLb1ELb1EEEEEvT_jjPNS5_10value_typeE,@function
_ZN7rocprim17ROCPRIM_304000_NS6detail31init_lookback_scan_state_kernelINS1_19lookback_scan_stateIiLb1ELb1EEEEEvT_jjPNS5_10value_typeE: ; @_ZN7rocprim17ROCPRIM_304000_NS6detail31init_lookback_scan_state_kernelINS1_19lookback_scan_stateIiLb1ELb1EEEEEvT_jjPNS5_10value_typeE
; %bb.0:
	s_load_dword s3, s[0:1], 0x24
	s_load_dwordx2 s[8:9], s[0:1], 0x10
	s_load_dwordx4 s[4:7], s[0:1], 0x0
	s_waitcnt lgkmcnt(0)
	s_and_b32 s0, s3, 0xffff
	s_mul_i32 s2, s2, s0
	s_cmp_eq_u64 s[8:9], 0
	v_add_u32_e32 v0, s2, v0
	s_cbranch_scc1 .LBB24_9
; %bb.1:
	s_cmp_lt_u32 s7, s6
	s_cselect_b32 s0, s7, 0
	s_mov_b32 s3, 0
	v_cmp_eq_u32_e32 vcc, s0, v0
	s_and_saveexec_b64 s[0:1], vcc
	s_cbranch_execz .LBB24_8
; %bb.2:
	s_add_i32 s2, s7, 64
	s_lshl_b64 s[2:3], s[2:3], 3
	s_add_u32 s2, s4, s2
	s_addc_u32 s3, s5, s3
	v_mov_b32_e32 v2, 0
	global_load_dwordx2 v[4:5], v2, s[2:3] sc1
	s_waitcnt vmcnt(0)
	v_and_b32_e32 v3, 0xff, v5
	v_cmp_ne_u64_e32 vcc, 0, v[2:3]
	s_cbranch_vccnz .LBB24_7
; %bb.3:
	s_mov_b32 s7, 1
.LBB24_4:                               ; =>This Loop Header: Depth=1
                                        ;     Child Loop BB24_5 Depth 2
	s_max_u32 s10, s7, 1
.LBB24_5:                               ;   Parent Loop BB24_4 Depth=1
                                        ; =>  This Inner Loop Header: Depth=2
	s_add_i32 s10, s10, -1
	s_cmp_eq_u32 s10, 0
	s_sleep 1
	s_cbranch_scc0 .LBB24_5
; %bb.6:                                ;   in Loop: Header=BB24_4 Depth=1
	global_load_dwordx2 v[4:5], v2, s[2:3] sc1
	s_cmp_lt_u32 s7, 32
	s_cselect_b64 s[10:11], -1, 0
	s_cmp_lg_u64 s[10:11], 0
	s_addc_u32 s7, s7, 0
	s_waitcnt vmcnt(0)
	v_and_b32_e32 v3, 0xff, v5
	v_cmp_ne_u64_e32 vcc, 0, v[2:3]
	s_cbranch_vccz .LBB24_4
.LBB24_7:
	v_mov_b32_e32 v1, 0
	global_store_dword v1, v4, s[8:9]
.LBB24_8:
	s_or_b64 exec, exec, s[0:1]
.LBB24_9:
	v_cmp_gt_u32_e32 vcc, s6, v0
	s_and_saveexec_b64 s[0:1], vcc
	s_cbranch_execnz .LBB24_12
; %bb.10:
	s_or_b64 exec, exec, s[0:1]
	v_cmp_gt_u32_e32 vcc, 64, v0
	s_and_saveexec_b64 s[0:1], vcc
	s_cbranch_execnz .LBB24_13
.LBB24_11:
	s_endpgm
.LBB24_12:
	v_add_u32_e32 v2, 64, v0
	v_mov_b32_e32 v3, 0
	v_lshl_add_u64 v[4:5], v[2:3], 3, s[4:5]
	v_mov_b32_e32 v2, v3
	global_store_dwordx2 v[4:5], v[2:3], off
	s_or_b64 exec, exec, s[0:1]
	v_cmp_gt_u32_e32 vcc, 64, v0
	s_and_saveexec_b64 s[0:1], vcc
	s_cbranch_execz .LBB24_11
.LBB24_13:
	v_mov_b32_e32 v1, 0
	v_lshl_add_u64 v[2:3], v[0:1], 3, s[4:5]
	v_mov_b32_e32 v5, 0xff
	v_mov_b32_e32 v4, v1
	global_store_dwordx2 v[2:3], v[4:5], off
	s_endpgm
	.section	.rodata,"a",@progbits
	.p2align	6, 0x0
	.amdhsa_kernel _ZN7rocprim17ROCPRIM_304000_NS6detail31init_lookback_scan_state_kernelINS1_19lookback_scan_stateIiLb1ELb1EEEEEvT_jjPNS5_10value_typeE
		.amdhsa_group_segment_fixed_size 0
		.amdhsa_private_segment_fixed_size 0
		.amdhsa_kernarg_size 280
		.amdhsa_user_sgpr_count 2
		.amdhsa_user_sgpr_dispatch_ptr 0
		.amdhsa_user_sgpr_queue_ptr 0
		.amdhsa_user_sgpr_kernarg_segment_ptr 1
		.amdhsa_user_sgpr_dispatch_id 0
		.amdhsa_user_sgpr_kernarg_preload_length 0
		.amdhsa_user_sgpr_kernarg_preload_offset 0
		.amdhsa_user_sgpr_private_segment_size 0
		.amdhsa_uses_dynamic_stack 0
		.amdhsa_enable_private_segment 0
		.amdhsa_system_sgpr_workgroup_id_x 1
		.amdhsa_system_sgpr_workgroup_id_y 0
		.amdhsa_system_sgpr_workgroup_id_z 0
		.amdhsa_system_sgpr_workgroup_info 0
		.amdhsa_system_vgpr_workitem_id 0
		.amdhsa_next_free_vgpr 6
		.amdhsa_next_free_sgpr 12
		.amdhsa_accum_offset 8
		.amdhsa_reserve_vcc 1
		.amdhsa_float_round_mode_32 0
		.amdhsa_float_round_mode_16_64 0
		.amdhsa_float_denorm_mode_32 3
		.amdhsa_float_denorm_mode_16_64 3
		.amdhsa_dx10_clamp 1
		.amdhsa_ieee_mode 1
		.amdhsa_fp16_overflow 0
		.amdhsa_tg_split 0
		.amdhsa_exception_fp_ieee_invalid_op 0
		.amdhsa_exception_fp_denorm_src 0
		.amdhsa_exception_fp_ieee_div_zero 0
		.amdhsa_exception_fp_ieee_overflow 0
		.amdhsa_exception_fp_ieee_underflow 0
		.amdhsa_exception_fp_ieee_inexact 0
		.amdhsa_exception_int_div_zero 0
	.end_amdhsa_kernel
	.section	.text._ZN7rocprim17ROCPRIM_304000_NS6detail31init_lookback_scan_state_kernelINS1_19lookback_scan_stateIiLb1ELb1EEEEEvT_jjPNS5_10value_typeE,"axG",@progbits,_ZN7rocprim17ROCPRIM_304000_NS6detail31init_lookback_scan_state_kernelINS1_19lookback_scan_stateIiLb1ELb1EEEEEvT_jjPNS5_10value_typeE,comdat
.Lfunc_end24:
	.size	_ZN7rocprim17ROCPRIM_304000_NS6detail31init_lookback_scan_state_kernelINS1_19lookback_scan_stateIiLb1ELb1EEEEEvT_jjPNS5_10value_typeE, .Lfunc_end24-_ZN7rocprim17ROCPRIM_304000_NS6detail31init_lookback_scan_state_kernelINS1_19lookback_scan_stateIiLb1ELb1EEEEEvT_jjPNS5_10value_typeE
                                        ; -- End function
	.section	.AMDGPU.csdata,"",@progbits
; Kernel info:
; codeLenInByte = 320
; NumSgprs: 18
; NumVgprs: 6
; NumAgprs: 0
; TotalNumVgprs: 6
; ScratchSize: 0
; MemoryBound: 0
; FloatMode: 240
; IeeeMode: 1
; LDSByteSize: 0 bytes/workgroup (compile time only)
; SGPRBlocks: 2
; VGPRBlocks: 0
; NumSGPRsForWavesPerEU: 18
; NumVGPRsForWavesPerEU: 6
; AccumOffset: 8
; Occupancy: 8
; WaveLimiterHint : 0
; COMPUTE_PGM_RSRC2:SCRATCH_EN: 0
; COMPUTE_PGM_RSRC2:USER_SGPR: 2
; COMPUTE_PGM_RSRC2:TRAP_HANDLER: 0
; COMPUTE_PGM_RSRC2:TGID_X_EN: 1
; COMPUTE_PGM_RSRC2:TGID_Y_EN: 0
; COMPUTE_PGM_RSRC2:TGID_Z_EN: 0
; COMPUTE_PGM_RSRC2:TIDIG_COMP_CNT: 0
; COMPUTE_PGM_RSRC3_GFX90A:ACCUM_OFFSET: 1
; COMPUTE_PGM_RSRC3_GFX90A:TG_SPLIT: 0
	.section	.text._ZN7rocprim17ROCPRIM_304000_NS6detail31init_lookback_scan_state_kernelINS1_19lookback_scan_stateIiLb0ELb1EEEEEvT_jjPNS5_10value_typeE,"axG",@progbits,_ZN7rocprim17ROCPRIM_304000_NS6detail31init_lookback_scan_state_kernelINS1_19lookback_scan_stateIiLb0ELb1EEEEEvT_jjPNS5_10value_typeE,comdat
	.protected	_ZN7rocprim17ROCPRIM_304000_NS6detail31init_lookback_scan_state_kernelINS1_19lookback_scan_stateIiLb0ELb1EEEEEvT_jjPNS5_10value_typeE ; -- Begin function _ZN7rocprim17ROCPRIM_304000_NS6detail31init_lookback_scan_state_kernelINS1_19lookback_scan_stateIiLb0ELb1EEEEEvT_jjPNS5_10value_typeE
	.globl	_ZN7rocprim17ROCPRIM_304000_NS6detail31init_lookback_scan_state_kernelINS1_19lookback_scan_stateIiLb0ELb1EEEEEvT_jjPNS5_10value_typeE
	.p2align	8
	.type	_ZN7rocprim17ROCPRIM_304000_NS6detail31init_lookback_scan_state_kernelINS1_19lookback_scan_stateIiLb0ELb1EEEEEvT_jjPNS5_10value_typeE,@function
_ZN7rocprim17ROCPRIM_304000_NS6detail31init_lookback_scan_state_kernelINS1_19lookback_scan_stateIiLb0ELb1EEEEEvT_jjPNS5_10value_typeE: ; @_ZN7rocprim17ROCPRIM_304000_NS6detail31init_lookback_scan_state_kernelINS1_19lookback_scan_stateIiLb0ELb1EEEEEvT_jjPNS5_10value_typeE
; %bb.0:
	s_load_dword s3, s[0:1], 0x24
	s_load_dwordx2 s[8:9], s[0:1], 0x10
	s_load_dwordx4 s[4:7], s[0:1], 0x0
	s_waitcnt lgkmcnt(0)
	s_and_b32 s0, s3, 0xffff
	s_mul_i32 s2, s2, s0
	s_cmp_eq_u64 s[8:9], 0
	v_add_u32_e32 v0, s2, v0
	s_cbranch_scc1 .LBB25_6
; %bb.1:
	s_cmp_lt_u32 s7, s6
	s_cselect_b32 s0, s7, 0
	s_mov_b32 s3, 0
	v_cmp_eq_u32_e32 vcc, s0, v0
	s_and_saveexec_b64 s[0:1], vcc
	s_cbranch_execz .LBB25_5
; %bb.2:
	s_add_i32 s2, s7, 64
	s_lshl_b64 s[2:3], s[2:3], 3
	s_add_u32 s2, s4, s2
	s_addc_u32 s3, s5, s3
	v_mov_b32_e32 v4, 0
	global_load_dwordx2 v[2:3], v4, s[2:3] sc1
	s_waitcnt vmcnt(0)
	v_and_b32_e32 v5, 0xff, v3
	v_cmp_ne_u64_e32 vcc, 0, v[4:5]
	s_cbranch_vccnz .LBB25_4
.LBB25_3:                               ; =>This Inner Loop Header: Depth=1
	global_load_dwordx2 v[2:3], v4, s[2:3] sc1
	s_waitcnt vmcnt(0)
	v_and_b32_e32 v5, 0xff, v3
	v_cmp_eq_u64_e32 vcc, 0, v[4:5]
	s_cbranch_vccnz .LBB25_3
.LBB25_4:
	v_mov_b32_e32 v1, 0
	global_store_dword v1, v2, s[8:9]
.LBB25_5:
	s_or_b64 exec, exec, s[0:1]
.LBB25_6:
	v_cmp_gt_u32_e32 vcc, s6, v0
	s_and_saveexec_b64 s[0:1], vcc
	s_cbranch_execnz .LBB25_9
; %bb.7:
	s_or_b64 exec, exec, s[0:1]
	v_cmp_gt_u32_e32 vcc, 64, v0
	s_and_saveexec_b64 s[0:1], vcc
	s_cbranch_execnz .LBB25_10
.LBB25_8:
	s_endpgm
.LBB25_9:
	v_add_u32_e32 v2, 64, v0
	v_mov_b32_e32 v3, 0
	v_lshl_add_u64 v[4:5], v[2:3], 3, s[4:5]
	v_mov_b32_e32 v2, v3
	global_store_dwordx2 v[4:5], v[2:3], off
	s_or_b64 exec, exec, s[0:1]
	v_cmp_gt_u32_e32 vcc, 64, v0
	s_and_saveexec_b64 s[0:1], vcc
	s_cbranch_execz .LBB25_8
.LBB25_10:
	v_mov_b32_e32 v1, 0
	v_lshl_add_u64 v[2:3], v[0:1], 3, s[4:5]
	v_mov_b32_e32 v5, 0xff
	v_mov_b32_e32 v4, v1
	global_store_dwordx2 v[2:3], v[4:5], off
	s_endpgm
	.section	.rodata,"a",@progbits
	.p2align	6, 0x0
	.amdhsa_kernel _ZN7rocprim17ROCPRIM_304000_NS6detail31init_lookback_scan_state_kernelINS1_19lookback_scan_stateIiLb0ELb1EEEEEvT_jjPNS5_10value_typeE
		.amdhsa_group_segment_fixed_size 0
		.amdhsa_private_segment_fixed_size 0
		.amdhsa_kernarg_size 280
		.amdhsa_user_sgpr_count 2
		.amdhsa_user_sgpr_dispatch_ptr 0
		.amdhsa_user_sgpr_queue_ptr 0
		.amdhsa_user_sgpr_kernarg_segment_ptr 1
		.amdhsa_user_sgpr_dispatch_id 0
		.amdhsa_user_sgpr_kernarg_preload_length 0
		.amdhsa_user_sgpr_kernarg_preload_offset 0
		.amdhsa_user_sgpr_private_segment_size 0
		.amdhsa_uses_dynamic_stack 0
		.amdhsa_enable_private_segment 0
		.amdhsa_system_sgpr_workgroup_id_x 1
		.amdhsa_system_sgpr_workgroup_id_y 0
		.amdhsa_system_sgpr_workgroup_id_z 0
		.amdhsa_system_sgpr_workgroup_info 0
		.amdhsa_system_vgpr_workitem_id 0
		.amdhsa_next_free_vgpr 6
		.amdhsa_next_free_sgpr 10
		.amdhsa_accum_offset 8
		.amdhsa_reserve_vcc 1
		.amdhsa_float_round_mode_32 0
		.amdhsa_float_round_mode_16_64 0
		.amdhsa_float_denorm_mode_32 3
		.amdhsa_float_denorm_mode_16_64 3
		.amdhsa_dx10_clamp 1
		.amdhsa_ieee_mode 1
		.amdhsa_fp16_overflow 0
		.amdhsa_tg_split 0
		.amdhsa_exception_fp_ieee_invalid_op 0
		.amdhsa_exception_fp_denorm_src 0
		.amdhsa_exception_fp_ieee_div_zero 0
		.amdhsa_exception_fp_ieee_overflow 0
		.amdhsa_exception_fp_ieee_underflow 0
		.amdhsa_exception_fp_ieee_inexact 0
		.amdhsa_exception_int_div_zero 0
	.end_amdhsa_kernel
	.section	.text._ZN7rocprim17ROCPRIM_304000_NS6detail31init_lookback_scan_state_kernelINS1_19lookback_scan_stateIiLb0ELb1EEEEEvT_jjPNS5_10value_typeE,"axG",@progbits,_ZN7rocprim17ROCPRIM_304000_NS6detail31init_lookback_scan_state_kernelINS1_19lookback_scan_stateIiLb0ELb1EEEEEvT_jjPNS5_10value_typeE,comdat
.Lfunc_end25:
	.size	_ZN7rocprim17ROCPRIM_304000_NS6detail31init_lookback_scan_state_kernelINS1_19lookback_scan_stateIiLb0ELb1EEEEEvT_jjPNS5_10value_typeE, .Lfunc_end25-_ZN7rocprim17ROCPRIM_304000_NS6detail31init_lookback_scan_state_kernelINS1_19lookback_scan_stateIiLb0ELb1EEEEEvT_jjPNS5_10value_typeE
                                        ; -- End function
	.section	.AMDGPU.csdata,"",@progbits
; Kernel info:
; codeLenInByte = 280
; NumSgprs: 16
; NumVgprs: 6
; NumAgprs: 0
; TotalNumVgprs: 6
; ScratchSize: 0
; MemoryBound: 0
; FloatMode: 240
; IeeeMode: 1
; LDSByteSize: 0 bytes/workgroup (compile time only)
; SGPRBlocks: 1
; VGPRBlocks: 0
; NumSGPRsForWavesPerEU: 16
; NumVGPRsForWavesPerEU: 6
; AccumOffset: 8
; Occupancy: 8
; WaveLimiterHint : 0
; COMPUTE_PGM_RSRC2:SCRATCH_EN: 0
; COMPUTE_PGM_RSRC2:USER_SGPR: 2
; COMPUTE_PGM_RSRC2:TRAP_HANDLER: 0
; COMPUTE_PGM_RSRC2:TGID_X_EN: 1
; COMPUTE_PGM_RSRC2:TGID_Y_EN: 0
; COMPUTE_PGM_RSRC2:TGID_Z_EN: 0
; COMPUTE_PGM_RSRC2:TIDIG_COMP_CNT: 0
; COMPUTE_PGM_RSRC3_GFX90A:ACCUM_OFFSET: 1
; COMPUTE_PGM_RSRC3_GFX90A:TG_SPLIT: 0
	.section	.text._ZN7rocprim17ROCPRIM_304000_NS6detail20lookback_scan_kernelILNS1_25lookback_scan_determinismE0ELb0ENS1_19wrapped_scan_configINS0_14default_configEiEEPKiPiSt4plusIiEiiNS1_19lookback_scan_stateIiLb1ELb1EEEEEvT2_T3_mT5_T4_T7_jPT6_SK_bb,"axG",@progbits,_ZN7rocprim17ROCPRIM_304000_NS6detail20lookback_scan_kernelILNS1_25lookback_scan_determinismE0ELb0ENS1_19wrapped_scan_configINS0_14default_configEiEEPKiPiSt4plusIiEiiNS1_19lookback_scan_stateIiLb1ELb1EEEEEvT2_T3_mT5_T4_T7_jPT6_SK_bb,comdat
	.protected	_ZN7rocprim17ROCPRIM_304000_NS6detail20lookback_scan_kernelILNS1_25lookback_scan_determinismE0ELb0ENS1_19wrapped_scan_configINS0_14default_configEiEEPKiPiSt4plusIiEiiNS1_19lookback_scan_stateIiLb1ELb1EEEEEvT2_T3_mT5_T4_T7_jPT6_SK_bb ; -- Begin function _ZN7rocprim17ROCPRIM_304000_NS6detail20lookback_scan_kernelILNS1_25lookback_scan_determinismE0ELb0ENS1_19wrapped_scan_configINS0_14default_configEiEEPKiPiSt4plusIiEiiNS1_19lookback_scan_stateIiLb1ELb1EEEEEvT2_T3_mT5_T4_T7_jPT6_SK_bb
	.globl	_ZN7rocprim17ROCPRIM_304000_NS6detail20lookback_scan_kernelILNS1_25lookback_scan_determinismE0ELb0ENS1_19wrapped_scan_configINS0_14default_configEiEEPKiPiSt4plusIiEiiNS1_19lookback_scan_stateIiLb1ELb1EEEEEvT2_T3_mT5_T4_T7_jPT6_SK_bb
	.p2align	8
	.type	_ZN7rocprim17ROCPRIM_304000_NS6detail20lookback_scan_kernelILNS1_25lookback_scan_determinismE0ELb0ENS1_19wrapped_scan_configINS0_14default_configEiEEPKiPiSt4plusIiEiiNS1_19lookback_scan_stateIiLb1ELb1EEEEEvT2_T3_mT5_T4_T7_jPT6_SK_bb,@function
_ZN7rocprim17ROCPRIM_304000_NS6detail20lookback_scan_kernelILNS1_25lookback_scan_determinismE0ELb0ENS1_19wrapped_scan_configINS0_14default_configEiEEPKiPiSt4plusIiEiiNS1_19lookback_scan_stateIiLb1ELb1EEEEEvT2_T3_mT5_T4_T7_jPT6_SK_bb: ; @_ZN7rocprim17ROCPRIM_304000_NS6detail20lookback_scan_kernelILNS1_25lookback_scan_determinismE0ELb0ENS1_19wrapped_scan_configINS0_14default_configEiEEPKiPiSt4plusIiEiiNS1_19lookback_scan_stateIiLb1ELb1EEEEEvT2_T3_mT5_T4_T7_jPT6_SK_bb
; %bb.0:
	s_endpgm
	.section	.rodata,"a",@progbits
	.p2align	6, 0x0
	.amdhsa_kernel _ZN7rocprim17ROCPRIM_304000_NS6detail20lookback_scan_kernelILNS1_25lookback_scan_determinismE0ELb0ENS1_19wrapped_scan_configINS0_14default_configEiEEPKiPiSt4plusIiEiiNS1_19lookback_scan_stateIiLb1ELb1EEEEEvT2_T3_mT5_T4_T7_jPT6_SK_bb
		.amdhsa_group_segment_fixed_size 0
		.amdhsa_private_segment_fixed_size 0
		.amdhsa_kernarg_size 68
		.amdhsa_user_sgpr_count 2
		.amdhsa_user_sgpr_dispatch_ptr 0
		.amdhsa_user_sgpr_queue_ptr 0
		.amdhsa_user_sgpr_kernarg_segment_ptr 1
		.amdhsa_user_sgpr_dispatch_id 0
		.amdhsa_user_sgpr_kernarg_preload_length 0
		.amdhsa_user_sgpr_kernarg_preload_offset 0
		.amdhsa_user_sgpr_private_segment_size 0
		.amdhsa_uses_dynamic_stack 0
		.amdhsa_enable_private_segment 0
		.amdhsa_system_sgpr_workgroup_id_x 1
		.amdhsa_system_sgpr_workgroup_id_y 0
		.amdhsa_system_sgpr_workgroup_id_z 0
		.amdhsa_system_sgpr_workgroup_info 0
		.amdhsa_system_vgpr_workitem_id 0
		.amdhsa_next_free_vgpr 1
		.amdhsa_next_free_sgpr 0
		.amdhsa_accum_offset 4
		.amdhsa_reserve_vcc 0
		.amdhsa_float_round_mode_32 0
		.amdhsa_float_round_mode_16_64 0
		.amdhsa_float_denorm_mode_32 3
		.amdhsa_float_denorm_mode_16_64 3
		.amdhsa_dx10_clamp 1
		.amdhsa_ieee_mode 1
		.amdhsa_fp16_overflow 0
		.amdhsa_tg_split 0
		.amdhsa_exception_fp_ieee_invalid_op 0
		.amdhsa_exception_fp_denorm_src 0
		.amdhsa_exception_fp_ieee_div_zero 0
		.amdhsa_exception_fp_ieee_overflow 0
		.amdhsa_exception_fp_ieee_underflow 0
		.amdhsa_exception_fp_ieee_inexact 0
		.amdhsa_exception_int_div_zero 0
	.end_amdhsa_kernel
	.section	.text._ZN7rocprim17ROCPRIM_304000_NS6detail20lookback_scan_kernelILNS1_25lookback_scan_determinismE0ELb0ENS1_19wrapped_scan_configINS0_14default_configEiEEPKiPiSt4plusIiEiiNS1_19lookback_scan_stateIiLb1ELb1EEEEEvT2_T3_mT5_T4_T7_jPT6_SK_bb,"axG",@progbits,_ZN7rocprim17ROCPRIM_304000_NS6detail20lookback_scan_kernelILNS1_25lookback_scan_determinismE0ELb0ENS1_19wrapped_scan_configINS0_14default_configEiEEPKiPiSt4plusIiEiiNS1_19lookback_scan_stateIiLb1ELb1EEEEEvT2_T3_mT5_T4_T7_jPT6_SK_bb,comdat
.Lfunc_end26:
	.size	_ZN7rocprim17ROCPRIM_304000_NS6detail20lookback_scan_kernelILNS1_25lookback_scan_determinismE0ELb0ENS1_19wrapped_scan_configINS0_14default_configEiEEPKiPiSt4plusIiEiiNS1_19lookback_scan_stateIiLb1ELb1EEEEEvT2_T3_mT5_T4_T7_jPT6_SK_bb, .Lfunc_end26-_ZN7rocprim17ROCPRIM_304000_NS6detail20lookback_scan_kernelILNS1_25lookback_scan_determinismE0ELb0ENS1_19wrapped_scan_configINS0_14default_configEiEEPKiPiSt4plusIiEiiNS1_19lookback_scan_stateIiLb1ELb1EEEEEvT2_T3_mT5_T4_T7_jPT6_SK_bb
                                        ; -- End function
	.section	.AMDGPU.csdata,"",@progbits
; Kernel info:
; codeLenInByte = 4
; NumSgprs: 6
; NumVgprs: 0
; NumAgprs: 0
; TotalNumVgprs: 0
; ScratchSize: 0
; MemoryBound: 0
; FloatMode: 240
; IeeeMode: 1
; LDSByteSize: 0 bytes/workgroup (compile time only)
; SGPRBlocks: 0
; VGPRBlocks: 0
; NumSGPRsForWavesPerEU: 6
; NumVGPRsForWavesPerEU: 1
; AccumOffset: 4
; Occupancy: 8
; WaveLimiterHint : 0
; COMPUTE_PGM_RSRC2:SCRATCH_EN: 0
; COMPUTE_PGM_RSRC2:USER_SGPR: 2
; COMPUTE_PGM_RSRC2:TRAP_HANDLER: 0
; COMPUTE_PGM_RSRC2:TGID_X_EN: 1
; COMPUTE_PGM_RSRC2:TGID_Y_EN: 0
; COMPUTE_PGM_RSRC2:TGID_Z_EN: 0
; COMPUTE_PGM_RSRC2:TIDIG_COMP_CNT: 0
; COMPUTE_PGM_RSRC3_GFX90A:ACCUM_OFFSET: 0
; COMPUTE_PGM_RSRC3_GFX90A:TG_SPLIT: 0
	.section	.text._ZN7rocprim17ROCPRIM_304000_NS6detail20lookback_scan_kernelILNS1_25lookback_scan_determinismE0ELb0ENS1_19wrapped_scan_configINS0_14default_configEiEEPKiPiSt4plusIiEiiNS1_19lookback_scan_stateIiLb0ELb1EEEEEvT2_T3_mT5_T4_T7_jPT6_SK_bb,"axG",@progbits,_ZN7rocprim17ROCPRIM_304000_NS6detail20lookback_scan_kernelILNS1_25lookback_scan_determinismE0ELb0ENS1_19wrapped_scan_configINS0_14default_configEiEEPKiPiSt4plusIiEiiNS1_19lookback_scan_stateIiLb0ELb1EEEEEvT2_T3_mT5_T4_T7_jPT6_SK_bb,comdat
	.protected	_ZN7rocprim17ROCPRIM_304000_NS6detail20lookback_scan_kernelILNS1_25lookback_scan_determinismE0ELb0ENS1_19wrapped_scan_configINS0_14default_configEiEEPKiPiSt4plusIiEiiNS1_19lookback_scan_stateIiLb0ELb1EEEEEvT2_T3_mT5_T4_T7_jPT6_SK_bb ; -- Begin function _ZN7rocprim17ROCPRIM_304000_NS6detail20lookback_scan_kernelILNS1_25lookback_scan_determinismE0ELb0ENS1_19wrapped_scan_configINS0_14default_configEiEEPKiPiSt4plusIiEiiNS1_19lookback_scan_stateIiLb0ELb1EEEEEvT2_T3_mT5_T4_T7_jPT6_SK_bb
	.globl	_ZN7rocprim17ROCPRIM_304000_NS6detail20lookback_scan_kernelILNS1_25lookback_scan_determinismE0ELb0ENS1_19wrapped_scan_configINS0_14default_configEiEEPKiPiSt4plusIiEiiNS1_19lookback_scan_stateIiLb0ELb1EEEEEvT2_T3_mT5_T4_T7_jPT6_SK_bb
	.p2align	8
	.type	_ZN7rocprim17ROCPRIM_304000_NS6detail20lookback_scan_kernelILNS1_25lookback_scan_determinismE0ELb0ENS1_19wrapped_scan_configINS0_14default_configEiEEPKiPiSt4plusIiEiiNS1_19lookback_scan_stateIiLb0ELb1EEEEEvT2_T3_mT5_T4_T7_jPT6_SK_bb,@function
_ZN7rocprim17ROCPRIM_304000_NS6detail20lookback_scan_kernelILNS1_25lookback_scan_determinismE0ELb0ENS1_19wrapped_scan_configINS0_14default_configEiEEPKiPiSt4plusIiEiiNS1_19lookback_scan_stateIiLb0ELb1EEEEEvT2_T3_mT5_T4_T7_jPT6_SK_bb: ; @_ZN7rocprim17ROCPRIM_304000_NS6detail20lookback_scan_kernelILNS1_25lookback_scan_determinismE0ELb0ENS1_19wrapped_scan_configINS0_14default_configEiEEPKiPiSt4plusIiEiiNS1_19lookback_scan_stateIiLb0ELb1EEEEEvT2_T3_mT5_T4_T7_jPT6_SK_bb
; %bb.0:
	s_load_dword s3, s[0:1], 0x28
	s_load_dwordx4 s[8:11], s[0:1], 0x0
	s_load_dwordx2 s[4:5], s[0:1], 0x10
	s_mul_i32 s6, s2, 0x1500
	s_mov_b32 s7, 0
	s_waitcnt lgkmcnt(0)
	s_add_i32 s3, s3, -1
	s_mul_i32 s12, s3, 0x1500
	s_sub_u32 s20, s4, s12
	s_subb_u32 s21, s5, 0
	s_cmp_lg_u32 s2, s3
	s_cselect_b64 s[12:13], -1, 0
	s_lshl_b64 s[14:15], s[6:7], 2
	s_add_u32 s6, s8, s14
	s_addc_u32 s7, s9, s15
	s_mov_b64 s[4:5], -1
	s_and_b64 vcc, exec, s[12:13]
	v_lshlrev_b32_e32 v2, 2, v0
	s_cbranch_vccz .LBB27_2
; %bb.1:
	v_mov_b32_e32 v3, 0
	v_lshl_add_u64 v[4:5], s[6:7], 0, v[2:3]
	v_add_co_u32_e32 v6, vcc, 0x1000, v4
	global_load_dword v1, v2, s[6:7]
	global_load_dword v3, v2, s[6:7] offset:1024
	global_load_dword v10, v2, s[6:7] offset:2048
	;; [unrolled: 1-line block ×3, first 2 shown]
	v_addc_co_u32_e32 v7, vcc, 0, v5, vcc
	v_add_co_u32_e32 v8, vcc, 0x2000, v4
	s_mov_b64 s[4:5], 0
	s_nop 0
	v_addc_co_u32_e32 v9, vcc, 0, v5, vcc
	global_load_dword v12, v[6:7], off
	global_load_dword v13, v[6:7], off offset:1024
	global_load_dword v14, v[6:7], off offset:2048
	;; [unrolled: 1-line block ×3, first 2 shown]
	global_load_dword v16, v[8:9], off
	global_load_dword v17, v[8:9], off offset:1024
	global_load_dword v18, v[8:9], off offset:2048
	;; [unrolled: 1-line block ×3, first 2 shown]
	v_add_co_u32_e32 v6, vcc, 0x3000, v4
	s_nop 1
	v_addc_co_u32_e32 v7, vcc, 0, v5, vcc
	v_add_co_u32_e32 v8, vcc, 0x4000, v4
	s_nop 1
	v_addc_co_u32_e32 v9, vcc, 0, v5, vcc
	global_load_dword v20, v[6:7], off
	global_load_dword v21, v[6:7], off offset:1024
	global_load_dword v22, v[6:7], off offset:2048
	;; [unrolled: 1-line block ×3, first 2 shown]
	global_load_dword v24, v[8:9], off
	global_load_dword v25, v[8:9], off offset:1024
	global_load_dword v26, v[8:9], off offset:2048
	;; [unrolled: 1-line block ×3, first 2 shown]
	v_add_co_u32_e32 v4, vcc, 0x5000, v4
	s_nop 1
	v_addc_co_u32_e32 v5, vcc, 0, v5, vcc
	global_load_dword v4, v[4:5], off
	s_waitcnt vmcnt(19)
	ds_write2st64_b32 v2, v1, v3 offset1:4
	s_waitcnt vmcnt(17)
	ds_write2st64_b32 v2, v10, v11 offset0:8 offset1:12
	s_waitcnt vmcnt(15)
	ds_write2st64_b32 v2, v12, v13 offset0:16 offset1:20
	;; [unrolled: 2-line block ×9, first 2 shown]
	s_waitcnt vmcnt(0)
	ds_write_b32 v2, v4 offset:20480
	s_waitcnt lgkmcnt(0)
	s_barrier
.LBB27_2:
	s_andn2_b64 vcc, exec, s[4:5]
	v_cmp_gt_u32_e64 s[4:5], s20, v0
	s_cbranch_vccnz .LBB27_46
; %bb.3:
	s_load_dword s3, s[6:7], 0x0
	v_mov_b32_e32 v3, 0
	v_lshl_add_u64 v[4:5], s[6:7], 0, v[2:3]
	s_waitcnt lgkmcnt(0)
	v_mov_b32_e32 v1, s3
	s_and_saveexec_b64 s[6:7], s[4:5]
	s_cbranch_execz .LBB27_5
; %bb.4:
	global_load_dword v1, v[4:5], off
.LBB27_5:
	s_or_b64 exec, exec, s[6:7]
	v_or_b32_e32 v3, 0x100, v0
	v_cmp_gt_u32_e32 vcc, s20, v3
	v_mov_b32_e32 v3, s3
	s_and_saveexec_b64 s[4:5], vcc
	s_cbranch_execz .LBB27_7
; %bb.6:
	global_load_dword v3, v[4:5], off offset:1024
.LBB27_7:
	s_or_b64 exec, exec, s[4:5]
	v_or_b32_e32 v6, 0x200, v0
	v_cmp_gt_u32_e32 vcc, s20, v6
	v_mov_b32_e32 v6, s3
	s_and_saveexec_b64 s[4:5], vcc
	s_cbranch_execz .LBB27_9
; %bb.8:
	global_load_dword v6, v[4:5], off offset:2048
.LBB27_9:
	;; [unrolled: 9-line block ×3, first 2 shown]
	s_or_b64 exec, exec, s[4:5]
	v_or_b32_e32 v8, 0x400, v0
	v_cmp_gt_u32_e32 vcc, s20, v8
	v_mov_b32_e32 v8, s3
	s_and_saveexec_b64 s[4:5], vcc
	s_cbranch_execz .LBB27_13
; %bb.12:
	v_add_co_u32_e32 v8, vcc, 0x1000, v4
	s_nop 1
	v_addc_co_u32_e32 v9, vcc, 0, v5, vcc
	global_load_dword v8, v[8:9], off
.LBB27_13:
	s_or_b64 exec, exec, s[4:5]
	v_or_b32_e32 v9, 0x500, v0
	v_cmp_gt_u32_e32 vcc, s20, v9
	v_mov_b32_e32 v9, s3
	s_and_saveexec_b64 s[4:5], vcc
	s_cbranch_execz .LBB27_15
; %bb.14:
	v_add_co_u32_e32 v10, vcc, 0x1000, v4
	s_nop 1
	v_addc_co_u32_e32 v11, vcc, 0, v5, vcc
	global_load_dword v9, v[10:11], off offset:1024
.LBB27_15:
	s_or_b64 exec, exec, s[4:5]
	v_or_b32_e32 v10, 0x600, v0
	v_cmp_gt_u32_e32 vcc, s20, v10
	v_mov_b32_e32 v10, s3
	s_and_saveexec_b64 s[4:5], vcc
	s_cbranch_execz .LBB27_17
; %bb.16:
	v_add_co_u32_e32 v10, vcc, 0x1000, v4
	s_nop 1
	v_addc_co_u32_e32 v11, vcc, 0, v5, vcc
	global_load_dword v10, v[10:11], off offset:2048
.LBB27_17:
	s_or_b64 exec, exec, s[4:5]
	v_or_b32_e32 v11, 0x700, v0
	v_cmp_gt_u32_e32 vcc, s20, v11
	v_mov_b32_e32 v11, s3
	s_and_saveexec_b64 s[4:5], vcc
	s_cbranch_execz .LBB27_19
; %bb.18:
	v_add_co_u32_e32 v12, vcc, 0x1000, v4
	s_nop 1
	v_addc_co_u32_e32 v13, vcc, 0, v5, vcc
	global_load_dword v11, v[12:13], off offset:3072
.LBB27_19:
	s_or_b64 exec, exec, s[4:5]
	v_or_b32_e32 v12, 0x800, v0
	v_cmp_gt_u32_e32 vcc, s20, v12
	v_mov_b32_e32 v12, s3
	s_and_saveexec_b64 s[4:5], vcc
	s_cbranch_execz .LBB27_21
; %bb.20:
	v_add_co_u32_e32 v12, vcc, 0x2000, v4
	s_nop 1
	v_addc_co_u32_e32 v13, vcc, 0, v5, vcc
	global_load_dword v12, v[12:13], off
.LBB27_21:
	s_or_b64 exec, exec, s[4:5]
	v_or_b32_e32 v13, 0x900, v0
	v_cmp_gt_u32_e32 vcc, s20, v13
	v_mov_b32_e32 v13, s3
	s_and_saveexec_b64 s[4:5], vcc
	s_cbranch_execz .LBB27_23
; %bb.22:
	v_add_co_u32_e32 v14, vcc, 0x2000, v4
	s_nop 1
	v_addc_co_u32_e32 v15, vcc, 0, v5, vcc
	global_load_dword v13, v[14:15], off offset:1024
.LBB27_23:
	s_or_b64 exec, exec, s[4:5]
	v_or_b32_e32 v14, 0xa00, v0
	v_cmp_gt_u32_e32 vcc, s20, v14
	v_mov_b32_e32 v14, s3
	s_and_saveexec_b64 s[4:5], vcc
	s_cbranch_execz .LBB27_25
; %bb.24:
	v_add_co_u32_e32 v14, vcc, 0x2000, v4
	s_nop 1
	v_addc_co_u32_e32 v15, vcc, 0, v5, vcc
	global_load_dword v14, v[14:15], off offset:2048
.LBB27_25:
	s_or_b64 exec, exec, s[4:5]
	v_or_b32_e32 v15, 0xb00, v0
	v_cmp_gt_u32_e32 vcc, s20, v15
	v_mov_b32_e32 v15, s3
	s_and_saveexec_b64 s[4:5], vcc
	s_cbranch_execz .LBB27_27
; %bb.26:
	v_add_co_u32_e32 v16, vcc, 0x2000, v4
	s_nop 1
	v_addc_co_u32_e32 v17, vcc, 0, v5, vcc
	global_load_dword v15, v[16:17], off offset:3072
.LBB27_27:
	;; [unrolled: 48-line block ×4, first 2 shown]
	s_or_b64 exec, exec, s[4:5]
	v_or_b32_e32 v24, 0x1400, v0
	v_cmp_gt_u32_e32 vcc, s20, v24
	v_mov_b32_e32 v24, s3
	s_and_saveexec_b64 s[4:5], vcc
	s_cbranch_execz .LBB27_45
; %bb.44:
	v_add_co_u32_e32 v4, vcc, 0x5000, v4
	s_nop 1
	v_addc_co_u32_e32 v5, vcc, 0, v5, vcc
	global_load_dword v24, v[4:5], off
.LBB27_45:
	s_or_b64 exec, exec, s[4:5]
	s_waitcnt vmcnt(0)
	ds_write2st64_b32 v2, v1, v3 offset1:4
	ds_write2st64_b32 v2, v6, v7 offset0:8 offset1:12
	ds_write2st64_b32 v2, v8, v9 offset0:16 offset1:20
	;; [unrolled: 1-line block ×9, first 2 shown]
	ds_write_b32 v2, v24 offset:20480
	s_waitcnt lgkmcnt(0)
	s_barrier
.LBB27_46:
	v_mul_u32_u24_e32 v34, 21, v0
	v_lshlrev_b32_e32 v1, 2, v34
	ds_read2_b32 v[20:21], v1 offset1:1
	ds_read2_b32 v[22:23], v1 offset0:2 offset1:3
	ds_read2_b32 v[18:19], v1 offset0:4 offset1:5
	;; [unrolled: 1-line block ×9, first 2 shown]
	ds_read_b32 v1, v1 offset:80
	s_load_dwordx2 s[8:9], s[0:1], 0x20
	s_cmp_lg_u32 s2, 0
	v_mbcnt_lo_u32_b32 v36, -1, 0
	v_lshrrev_b32_e32 v3, 6, v0
	v_or_b32_e32 v35, 63, v0
	s_waitcnt lgkmcnt(0)
	s_barrier
	s_cbranch_scc0 .LBB27_73
; %bb.47:
	v_add3_u32 v24, v21, v20, v22
	v_add3_u32 v24, v24, v23, v18
	;; [unrolled: 1-line block ×9, first 2 shown]
	v_mbcnt_hi_u32_b32 v27, -1, v36
	v_add3_u32 v24, v24, v5, v1
	v_and_b32_e32 v25, 15, v27
	v_cmp_ne_u32_e32 vcc, 0, v25
	v_mov_b32_dpp v26, v24 row_shr:1 row_mask:0xf bank_mask:0xf
	s_nop 0
	v_cndmask_b32_e32 v26, 0, v26, vcc
	v_add_u32_e32 v24, v26, v24
	v_cmp_lt_u32_e32 vcc, 1, v25
	s_nop 0
	v_mov_b32_dpp v26, v24 row_shr:2 row_mask:0xf bank_mask:0xf
	v_cndmask_b32_e32 v26, 0, v26, vcc
	v_add_u32_e32 v24, v24, v26
	v_cmp_lt_u32_e32 vcc, 3, v25
	s_nop 0
	v_mov_b32_dpp v26, v24 row_shr:4 row_mask:0xf bank_mask:0xf
	;; [unrolled: 5-line block ×3, first 2 shown]
	v_cndmask_b32_e32 v25, 0, v26, vcc
	v_add_u32_e32 v24, v24, v25
	v_bfe_i32 v26, v27, 4, 1
	v_cmp_lt_u32_e32 vcc, 31, v27
	v_mov_b32_dpp v25, v24 row_bcast:15 row_mask:0xf bank_mask:0xf
	v_and_b32_e32 v25, v26, v25
	v_add_u32_e32 v24, v24, v25
	s_nop 1
	v_mov_b32_dpp v25, v24 row_bcast:31 row_mask:0xf bank_mask:0xf
	v_cndmask_b32_e32 v25, 0, v25, vcc
	v_add_u32_e32 v24, v24, v25
	v_cmp_eq_u32_e32 vcc, v35, v0
	s_and_saveexec_b64 s[4:5], vcc
	s_cbranch_execz .LBB27_49
; %bb.48:
	v_lshlrev_b32_e32 v25, 2, v3
	ds_write_b32 v25, v24
.LBB27_49:
	s_or_b64 exec, exec, s[4:5]
	v_cmp_gt_u32_e32 vcc, 4, v0
	s_waitcnt lgkmcnt(0)
	s_barrier
	s_and_saveexec_b64 s[4:5], vcc
	s_cbranch_execz .LBB27_51
; %bb.50:
	ds_read_b32 v25, v2
	v_and_b32_e32 v26, 3, v27
	v_cmp_ne_u32_e32 vcc, 0, v26
	s_waitcnt lgkmcnt(0)
	v_mov_b32_dpp v28, v25 row_shr:1 row_mask:0xf bank_mask:0xf
	v_cndmask_b32_e32 v28, 0, v28, vcc
	v_add_u32_e32 v25, v28, v25
	v_cmp_lt_u32_e32 vcc, 1, v26
	s_nop 0
	v_mov_b32_dpp v28, v25 row_shr:2 row_mask:0xf bank_mask:0xf
	v_cndmask_b32_e32 v26, 0, v28, vcc
	v_add_u32_e32 v25, v25, v26
	ds_write_b32 v2, v25
.LBB27_51:
	s_or_b64 exec, exec, s[4:5]
	v_cmp_gt_u32_e32 vcc, 64, v0
	v_cmp_lt_u32_e64 s[4:5], 63, v0
	s_waitcnt lgkmcnt(0)
	s_barrier
	s_waitcnt lgkmcnt(0)
                                        ; implicit-def: $vgpr37
	s_and_saveexec_b64 s[6:7], s[4:5]
	s_cbranch_execz .LBB27_53
; %bb.52:
	v_lshl_add_u32 v25, v3, 2, -4
	ds_read_b32 v37, v25
	s_waitcnt lgkmcnt(0)
	v_add_u32_e32 v24, v37, v24
.LBB27_53:
	s_or_b64 exec, exec, s[6:7]
	v_add_u32_e32 v25, -1, v27
	v_and_b32_e32 v26, 64, v27
	v_cmp_lt_i32_e64 s[4:5], v25, v26
	s_nop 1
	v_cndmask_b32_e64 v25, v25, v27, s[4:5]
	v_lshlrev_b32_e32 v25, 2, v25
	ds_bpermute_b32 v38, v25, v24
	v_cmp_eq_u32_e64 s[4:5], 0, v27
	s_and_saveexec_b64 s[6:7], vcc
	s_cbranch_execz .LBB27_72
; %bb.54:
	v_mov_b32_e32 v31, 0
	ds_read_b32 v24, v31 offset:12
	s_and_saveexec_b64 s[16:17], s[4:5]
	s_cbranch_execz .LBB27_56
; %bb.55:
	s_add_i32 s18, s2, 64
	s_mov_b32 s19, 0
	s_lshl_b64 s[18:19], s[18:19], 3
	s_add_u32 s18, s8, s18
	s_addc_u32 s19, s9, s19
	v_mov_b32_e32 v25, 1
	s_waitcnt lgkmcnt(0)
	global_store_dwordx2 v31, v[24:25], s[18:19] sc1
.LBB27_56:
	s_or_b64 exec, exec, s[16:17]
	v_xad_u32 v26, v27, -1, s2
	v_add_u32_e32 v30, 64, v26
	v_lshl_add_u64 v[32:33], v[30:31], 3, s[8:9]
	global_load_dwordx2 v[28:29], v[32:33], off sc1
	s_waitcnt vmcnt(0)
	v_cmp_eq_u16_sdwa s[18:19], v29, v31 src0_sel:BYTE_0 src1_sel:DWORD
	s_and_saveexec_b64 s[16:17], s[18:19]
	s_cbranch_execz .LBB27_60
; %bb.57:
	s_mov_b64 s[18:19], 0
	v_mov_b32_e32 v25, 0
.LBB27_58:                              ; =>This Inner Loop Header: Depth=1
	global_load_dwordx2 v[28:29], v[32:33], off sc1
	s_waitcnt vmcnt(0)
	v_cmp_ne_u16_sdwa s[22:23], v29, v25 src0_sel:BYTE_0 src1_sel:DWORD
	s_or_b64 s[18:19], s[22:23], s[18:19]
	s_andn2_b64 exec, exec, s[18:19]
	s_cbranch_execnz .LBB27_58
; %bb.59:
	s_or_b64 exec, exec, s[18:19]
.LBB27_60:
	s_or_b64 exec, exec, s[16:17]
	v_and_b32_e32 v47, 63, v27
	v_mov_b32_e32 v25, 2
	v_cmp_ne_u32_e32 vcc, 63, v47
	v_cmp_eq_u16_sdwa s[16:17], v29, v25 src0_sel:BYTE_0 src1_sel:DWORD
	v_lshlrev_b64 v[30:31], v27, -1
	v_addc_co_u32_e32 v39, vcc, 0, v27, vcc
	v_and_b32_e32 v32, s17, v31
	v_lshlrev_b32_e32 v39, 2, v39
	v_or_b32_e32 v32, 0x80000000, v32
	ds_bpermute_b32 v41, v39, v28
	v_and_b32_e32 v33, s16, v30
	v_ffbl_b32_e32 v32, v32
	v_add_u32_e32 v32, 32, v32
	v_ffbl_b32_e32 v33, v33
	v_min_u32_e32 v32, v33, v32
	v_add_u32_e32 v40, 1, v27
	v_cmp_le_u32_e32 vcc, v40, v32
	v_add_u32_e32 v42, 2, v27
	v_add_u32_e32 v44, 4, v27
	s_waitcnt lgkmcnt(0)
	v_cndmask_b32_e32 v33, 0, v41, vcc
	v_cmp_gt_u32_e32 vcc, 62, v47
	v_add_u32_e32 v28, v33, v28
	v_add_u32_e32 v46, 8, v27
	v_cndmask_b32_e64 v33, 0, 1, vcc
	v_lshlrev_b32_e32 v33, 1, v33
	v_add_lshl_u32 v41, v33, v27, 2
	ds_bpermute_b32 v33, v41, v28
	v_cmp_le_u32_e32 vcc, v42, v32
	v_add_u32_e32 v49, 16, v27
	v_add_u32_e32 v51, 32, v27
	s_waitcnt lgkmcnt(0)
	v_cndmask_b32_e32 v33, 0, v33, vcc
	v_cmp_gt_u32_e32 vcc, 60, v47
	v_add_u32_e32 v28, v28, v33
	s_nop 0
	v_cndmask_b32_e64 v33, 0, 1, vcc
	v_lshlrev_b32_e32 v33, 2, v33
	v_add_lshl_u32 v43, v33, v27, 2
	ds_bpermute_b32 v33, v43, v28
	v_cmp_le_u32_e32 vcc, v44, v32
	s_waitcnt lgkmcnt(0)
	s_nop 0
	v_cndmask_b32_e32 v33, 0, v33, vcc
	v_cmp_gt_u32_e32 vcc, 56, v47
	v_add_u32_e32 v28, v28, v33
	s_nop 0
	v_cndmask_b32_e64 v33, 0, 1, vcc
	v_lshlrev_b32_e32 v33, 3, v33
	v_add_lshl_u32 v45, v33, v27, 2
	ds_bpermute_b32 v33, v45, v28
	v_cmp_le_u32_e32 vcc, v46, v32
	s_waitcnt lgkmcnt(0)
	s_nop 0
	;; [unrolled: 11-line block ×4, first 2 shown]
	v_cndmask_b32_e32 v27, 0, v33, vcc
	v_add_u32_e32 v28, v28, v27
	v_mov_b32_e32 v27, 0
	s_branch .LBB27_62
.LBB27_61:                              ;   in Loop: Header=BB27_62 Depth=1
	s_or_b64 exec, exec, s[16:17]
	v_cmp_eq_u16_sdwa s[16:17], v29, v25 src0_sel:BYTE_0 src1_sel:DWORD
	ds_bpermute_b32 v52, v39, v28
	v_subrev_u32_e32 v26, 64, v26
	v_and_b32_e32 v32, s17, v31
	v_or_b32_e32 v32, 0x80000000, v32
	v_and_b32_e32 v33, s16, v30
	v_ffbl_b32_e32 v32, v32
	v_add_u32_e32 v32, 32, v32
	v_ffbl_b32_e32 v33, v33
	v_min_u32_e32 v32, v33, v32
	v_cmp_le_u32_e32 vcc, v40, v32
	s_waitcnt lgkmcnt(0)
	s_nop 0
	v_cndmask_b32_e32 v33, 0, v52, vcc
	v_add_u32_e32 v28, v33, v28
	ds_bpermute_b32 v33, v41, v28
	v_cmp_le_u32_e32 vcc, v42, v32
	s_waitcnt lgkmcnt(0)
	s_nop 0
	v_cndmask_b32_e32 v33, 0, v33, vcc
	v_add_u32_e32 v28, v28, v33
	ds_bpermute_b32 v33, v43, v28
	;; [unrolled: 6-line block ×5, first 2 shown]
	v_cmp_le_u32_e32 vcc, v51, v32
	s_waitcnt lgkmcnt(0)
	s_nop 0
	v_cndmask_b32_e32 v32, 0, v33, vcc
	v_add3_u32 v28, v32, v47, v28
.LBB27_62:                              ; =>This Loop Header: Depth=1
                                        ;     Child Loop BB27_65 Depth 2
	v_cmp_ne_u16_sdwa s[16:17], v29, v25 src0_sel:BYTE_0 src1_sel:DWORD
	v_mov_b32_e32 v47, v28
	s_nop 0
	v_cndmask_b32_e64 v29, 0, 1, s[16:17]
	;;#ASMSTART
	;;#ASMEND
	s_nop 0
	v_cmp_ne_u32_e32 vcc, 0, v29
	s_cmp_lg_u64 vcc, exec
	s_cbranch_scc1 .LBB27_67
; %bb.63:                               ;   in Loop: Header=BB27_62 Depth=1
	v_lshl_add_u64 v[32:33], v[26:27], 3, s[8:9]
	global_load_dwordx2 v[28:29], v[32:33], off sc1
	s_waitcnt vmcnt(0)
	v_cmp_eq_u16_sdwa s[18:19], v29, v27 src0_sel:BYTE_0 src1_sel:DWORD
	s_and_saveexec_b64 s[16:17], s[18:19]
	s_cbranch_execz .LBB27_61
; %bb.64:                               ;   in Loop: Header=BB27_62 Depth=1
	s_mov_b64 s[18:19], 0
.LBB27_65:                              ;   Parent Loop BB27_62 Depth=1
                                        ; =>  This Inner Loop Header: Depth=2
	global_load_dwordx2 v[28:29], v[32:33], off sc1
	s_waitcnt vmcnt(0)
	v_cmp_ne_u16_sdwa s[22:23], v29, v27 src0_sel:BYTE_0 src1_sel:DWORD
	s_or_b64 s[18:19], s[22:23], s[18:19]
	s_andn2_b64 exec, exec, s[18:19]
	s_cbranch_execnz .LBB27_65
; %bb.66:                               ;   in Loop: Header=BB27_62 Depth=1
	s_or_b64 exec, exec, s[18:19]
	s_branch .LBB27_61
.LBB27_67:                              ;   in Loop: Header=BB27_62 Depth=1
                                        ; implicit-def: $vgpr28
                                        ; implicit-def: $vgpr29
	s_cbranch_execz .LBB27_62
; %bb.68:
	s_and_saveexec_b64 s[16:17], s[4:5]
	s_cbranch_execz .LBB27_70
; %bb.69:
	s_add_i32 s2, s2, 64
	s_mov_b32 s3, 0
	s_lshl_b64 s[2:3], s[2:3], 3
	s_add_u32 s2, s8, s2
	s_addc_u32 s3, s9, s3
	v_mov_b32_e32 v26, 0
	v_add_u32_e32 v24, v47, v24
	v_mov_b32_e32 v25, 2
	global_store_dwordx2 v26, v[24:25], s[2:3] sc1
.LBB27_70:
	s_or_b64 exec, exec, s[16:17]
	v_cmp_eq_u32_e32 vcc, 0, v0
	s_and_b64 exec, exec, vcc
	s_cbranch_execz .LBB27_72
; %bb.71:
	v_mov_b32_e32 v24, 0
	ds_write_b32 v24, v47 offset:12
.LBB27_72:
	s_or_b64 exec, exec, s[6:7]
	v_mov_b32_e32 v24, 0
	s_waitcnt lgkmcnt(0)
	s_barrier
	ds_read_b32 v24, v24 offset:12
	v_cndmask_b32_e64 v25, v38, v37, s[4:5]
	v_cmp_ne_u32_e32 vcc, 0, v0
	s_nop 1
	v_cndmask_b32_e32 v25, 0, v25, vcc
	s_waitcnt lgkmcnt(0)
	v_add3_u32 v24, v25, v20, v24
	s_load_dwordx4 s[4:7], s[0:1], 0x30
	s_branch .LBB27_85
.LBB27_73:
                                        ; implicit-def: $vgpr24
	s_load_dwordx4 s[4:7], s[0:1], 0x30
	s_cbranch_execz .LBB27_85
; %bb.74:
	s_load_dword s2, s[0:1], 0x40
	v_cmp_eq_u32_e32 vcc, 0, v0
	s_waitcnt lgkmcnt(0)
	s_bitcmp1_b32 s2, 0
	s_cselect_b64 s[2:3], -1, 0
	s_and_b64 s[16:17], vcc, s[2:3]
	s_and_saveexec_b64 s[2:3], s[16:17]
	s_cbranch_execz .LBB27_76
; %bb.75:
	s_load_dword s4, s[4:5], 0x0
	s_waitcnt lgkmcnt(0)
	v_add_u32_e32 v20, s4, v20
.LBB27_76:
	s_or_b64 exec, exec, s[2:3]
	v_add3_u32 v24, v22, v21, v23
	v_add3_u32 v24, v24, v18, v19
	;; [unrolled: 1-line block ×10, first 2 shown]
	v_mbcnt_hi_u32_b32 v24, -1, v36
	v_and_b32_e32 v26, 15, v24
	v_mov_b32_dpp v27, v25 row_shr:1 row_mask:0xf bank_mask:0xf
	v_cmp_ne_u32_e64 s[2:3], 0, v26
	s_nop 1
	v_cndmask_b32_e64 v27, 0, v27, s[2:3]
	v_add_u32_e32 v25, v25, v27
	v_cmp_lt_u32_e64 s[2:3], 1, v26
	s_nop 0
	v_mov_b32_dpp v27, v25 row_shr:2 row_mask:0xf bank_mask:0xf
	v_cndmask_b32_e64 v27, 0, v27, s[2:3]
	v_add_u32_e32 v25, v25, v27
	v_cmp_lt_u32_e64 s[2:3], 3, v26
	s_nop 0
	v_mov_b32_dpp v27, v25 row_shr:4 row_mask:0xf bank_mask:0xf
	;; [unrolled: 5-line block ×3, first 2 shown]
	v_cndmask_b32_e64 v26, 0, v27, s[2:3]
	v_add_u32_e32 v25, v25, v26
	v_bfe_i32 v27, v24, 4, 1
	v_cmp_lt_u32_e64 s[2:3], 31, v24
	v_mov_b32_dpp v26, v25 row_bcast:15 row_mask:0xf bank_mask:0xf
	v_and_b32_e32 v26, v27, v26
	v_add_u32_e32 v25, v25, v26
	s_nop 1
	v_mov_b32_dpp v26, v25 row_bcast:31 row_mask:0xf bank_mask:0xf
	v_cndmask_b32_e64 v26, 0, v26, s[2:3]
	v_add_u32_e32 v25, v25, v26
	v_cmp_eq_u32_e64 s[2:3], v35, v0
	s_and_saveexec_b64 s[4:5], s[2:3]
	s_cbranch_execz .LBB27_78
; %bb.77:
	v_lshlrev_b32_e32 v26, 2, v3
	ds_write_b32 v26, v25
.LBB27_78:
	s_or_b64 exec, exec, s[4:5]
	v_cmp_gt_u32_e64 s[2:3], 4, v0
	s_waitcnt lgkmcnt(0)
	s_barrier
	s_and_saveexec_b64 s[4:5], s[2:3]
	s_cbranch_execz .LBB27_80
; %bb.79:
	ds_read_b32 v26, v2
	v_and_b32_e32 v27, 3, v24
	v_cmp_ne_u32_e64 s[2:3], 0, v27
	s_waitcnt lgkmcnt(0)
	v_mov_b32_dpp v28, v26 row_shr:1 row_mask:0xf bank_mask:0xf
	v_cndmask_b32_e64 v28, 0, v28, s[2:3]
	v_add_u32_e32 v26, v28, v26
	v_cmp_lt_u32_e64 s[2:3], 1, v27
	s_nop 0
	v_mov_b32_dpp v28, v26 row_shr:2 row_mask:0xf bank_mask:0xf
	v_cndmask_b32_e64 v27, 0, v28, s[2:3]
	v_add_u32_e32 v26, v26, v27
	ds_write_b32 v2, v26
.LBB27_80:
	s_or_b64 exec, exec, s[4:5]
	v_cmp_lt_u32_e64 s[2:3], 63, v0
	s_waitcnt lgkmcnt(0)
	s_barrier
	s_waitcnt lgkmcnt(0)
                                        ; implicit-def: $vgpr26
	s_and_saveexec_b64 s[4:5], s[2:3]
	s_cbranch_execz .LBB27_82
; %bb.81:
	v_lshl_add_u32 v3, v3, 2, -4
	ds_read_b32 v26, v3
	s_waitcnt lgkmcnt(0)
	v_add_u32_e32 v25, v26, v25
.LBB27_82:
	s_or_b64 exec, exec, s[4:5]
	v_add_u32_e32 v3, -1, v24
	v_and_b32_e32 v27, 64, v24
	v_cmp_lt_i32_e64 s[2:3], v3, v27
	s_nop 1
	v_cndmask_b32_e64 v3, v3, v24, s[2:3]
	v_lshlrev_b32_e32 v3, 2, v3
	ds_bpermute_b32 v3, v3, v25
	v_cmp_eq_u32_e64 s[2:3], 0, v24
	s_waitcnt lgkmcnt(0)
	s_nop 0
	v_cndmask_b32_e64 v3, v3, v26, s[2:3]
	v_cndmask_b32_e64 v3, v3, 0, vcc
	s_and_saveexec_b64 s[2:3], vcc
	s_cbranch_execz .LBB27_84
; %bb.83:
	v_mov_b32_e32 v26, 0
	ds_read_b32 v24, v26 offset:12
	v_mov_b32_e32 v25, 2
	s_waitcnt lgkmcnt(0)
	global_store_dwordx2 v26, v[24:25], s[8:9] offset:512 sc1
.LBB27_84:
	s_or_b64 exec, exec, s[2:3]
	v_add_u32_e32 v24, v3, v20
.LBB27_85:
	v_add_u32_e32 v20, v24, v21
	v_add_u32_e32 v21, v20, v22
	;; [unrolled: 1-line block ×19, first 2 shown]
	s_add_u32 s2, s10, s14
	v_add_u32_e32 v1, v5, v1
	s_addc_u32 s3, s11, s15
	s_waitcnt lgkmcnt(0)
	s_mov_b64 s[4:5], -1
	s_and_b64 vcc, exec, s[12:13]
	s_barrier
	s_cbranch_vccz .LBB27_87
; %bb.86:
	v_mul_u32_u24_e32 v3, 0x54, v0
	s_movk_i32 s4, 0x54
	ds_write2_b32 v3, v24, v20 offset1:1
	ds_write2_b32 v3, v21, v22 offset0:2 offset1:3
	ds_write2_b32 v3, v18, v19 offset0:4 offset1:5
	ds_write2_b32 v3, v16, v17 offset0:6 offset1:7
	ds_write2_b32 v3, v14, v15 offset0:8 offset1:9
	ds_write2_b32 v3, v12, v13 offset0:10 offset1:11
	ds_write2_b32 v3, v10, v11 offset0:12 offset1:13
	ds_write2_b32 v3, v8, v9 offset0:14 offset1:15
	ds_write2_b32 v3, v6, v7 offset0:16 offset1:17
	ds_write2_b32 v3, v4, v5 offset0:18 offset1:19
	ds_write_b32 v3, v1 offset:80
	v_mul_i32_i24_e32 v3, 0xffffffb0, v0
	v_mad_u32_u24 v3, v0, s4, v3
	s_waitcnt lgkmcnt(0)
	s_barrier
	ds_read2st64_b32 v[26:27], v3 offset1:4
	ds_read2st64_b32 v[28:29], v3 offset0:8 offset1:12
	ds_read2st64_b32 v[30:31], v3 offset0:16 offset1:20
	;; [unrolled: 1-line block ×9, first 2 shown]
	ds_read_b32 v23, v3 offset:20480
	v_mov_b32_e32 v3, 0
	v_lshl_add_u64 v[48:49], s[2:3], 0, v[2:3]
	s_movk_i32 s4, 0x1000
	s_waitcnt lgkmcnt(10)
	global_store_dword v2, v26, s[2:3]
	global_store_dword v2, v27, s[2:3] offset:1024
	s_waitcnt lgkmcnt(9)
	global_store_dword v2, v28, s[2:3] offset:2048
	global_store_dword v2, v29, s[2:3] offset:3072
	v_add_co_u32_e32 v26, vcc, s4, v48
	s_movk_i32 s4, 0x2000
	s_nop 0
	v_addc_co_u32_e32 v27, vcc, 0, v49, vcc
	v_add_co_u32_e32 v28, vcc, s4, v48
	s_movk_i32 s4, 0x3000
	s_nop 0
	v_addc_co_u32_e32 v29, vcc, 0, v49, vcc
	s_waitcnt lgkmcnt(8)
	global_store_dword v[28:29], v30, off offset:-4096
	global_store_dword v[26:27], v31, off offset:1024
	s_waitcnt lgkmcnt(7)
	global_store_dword v[26:27], v32, off offset:2048
	global_store_dword v[26:27], v33, off offset:3072
	s_waitcnt lgkmcnt(6)
	global_store_dword v[28:29], v36, off
	global_store_dword v[28:29], v37, off offset:1024
	s_waitcnt lgkmcnt(5)
	global_store_dword v[28:29], v38, off offset:2048
	global_store_dword v[28:29], v39, off offset:3072
	v_add_co_u32_e32 v26, vcc, s4, v48
	s_mov_b64 s[4:5], 0
	s_nop 0
	v_addc_co_u32_e32 v27, vcc, 0, v49, vcc
	s_waitcnt lgkmcnt(4)
	global_store_dword v[26:27], v40, off
	global_store_dword v[26:27], v41, off offset:1024
	s_waitcnt lgkmcnt(3)
	global_store_dword v[26:27], v42, off offset:2048
	global_store_dword v[26:27], v43, off offset:3072
	v_add_co_u32_e32 v26, vcc, 0x4000, v48
	s_nop 1
	v_addc_co_u32_e32 v27, vcc, 0, v49, vcc
	s_waitcnt lgkmcnt(2)
	global_store_dword v[26:27], v44, off
	global_store_dword v[26:27], v45, off offset:1024
	s_waitcnt lgkmcnt(1)
	global_store_dword v[26:27], v46, off offset:2048
	global_store_dword v[26:27], v47, off offset:3072
	v_add_co_u32_e32 v26, vcc, 0x5000, v48
	s_nop 1
	v_addc_co_u32_e32 v27, vcc, 0, v49, vcc
	s_waitcnt lgkmcnt(0)
	global_store_dword v[26:27], v23, off
.LBB27_87:
	s_andn2_b64 vcc, exec, s[4:5]
	s_cbranch_vccnz .LBB27_208
; %bb.88:
	v_mul_u32_u24_e32 v3, 0x54, v0
	s_movk_i32 s4, 0x54
	ds_write2_b32 v3, v24, v20 offset1:1
	ds_write2_b32 v3, v21, v22 offset0:2 offset1:3
	ds_write2_b32 v3, v18, v19 offset0:4 offset1:5
	;; [unrolled: 1-line block ×9, first 2 shown]
	ds_write_b32 v3, v1 offset:80
	v_mul_i32_i24_e32 v1, 0xffffffb0, v0
	v_mad_u32_u24 v1, v0, s4, v1
	s_waitcnt lgkmcnt(0)
	s_barrier
	ds_read2st64_b32 v[6:7], v1 offset1:4
	ds_read2st64_b32 v[8:9], v1 offset0:8 offset1:12
	ds_read2st64_b32 v[10:11], v1 offset0:16 offset1:20
	;; [unrolled: 1-line block ×9, first 2 shown]
	ds_read_b32 v26, v1 offset:20480
	v_mov_b32_e32 v3, 0
	v_lshl_add_u64 v[24:25], s[2:3], 0, v[2:3]
	v_cmp_gt_u32_e32 vcc, s20, v0
	s_and_saveexec_b64 s[2:3], vcc
	s_cbranch_execz .LBB27_90
; %bb.89:
	s_waitcnt lgkmcnt(10)
	global_store_dword v[24:25], v6, off
.LBB27_90:
	s_or_b64 exec, exec, s[2:3]
	v_or_b32_e32 v1, 0x100, v0
	v_cmp_gt_u32_e32 vcc, s20, v1
	s_and_saveexec_b64 s[2:3], vcc
	s_cbranch_execz .LBB27_92
; %bb.91:
	s_waitcnt lgkmcnt(10)
	global_store_dword v[24:25], v7, off offset:1024
.LBB27_92:
	s_or_b64 exec, exec, s[2:3]
	v_or_b32_e32 v1, 0x200, v0
	v_cmp_gt_u32_e32 vcc, s20, v1
	s_and_saveexec_b64 s[2:3], vcc
	s_cbranch_execz .LBB27_94
; %bb.93:
	s_waitcnt lgkmcnt(9)
	global_store_dword v[24:25], v8, off offset:2048
.LBB27_94:
	;; [unrolled: 9-line block ×3, first 2 shown]
	s_or_b64 exec, exec, s[2:3]
	v_or_b32_e32 v1, 0x400, v0
	v_cmp_gt_u32_e32 vcc, s20, v1
	s_and_saveexec_b64 s[2:3], vcc
	s_cbranch_execz .LBB27_98
; %bb.97:
	v_add_co_u32_e32 v28, vcc, 0x1000, v24
	s_nop 1
	v_addc_co_u32_e32 v29, vcc, 0, v25, vcc
	s_waitcnt lgkmcnt(8)
	global_store_dword v[28:29], v10, off
.LBB27_98:
	s_or_b64 exec, exec, s[2:3]
	v_or_b32_e32 v1, 0x500, v0
	v_cmp_gt_u32_e32 vcc, s20, v1
	s_and_saveexec_b64 s[2:3], vcc
	s_cbranch_execz .LBB27_100
; %bb.99:
	v_add_co_u32_e32 v28, vcc, 0x1000, v24
	s_nop 1
	v_addc_co_u32_e32 v29, vcc, 0, v25, vcc
	s_waitcnt lgkmcnt(8)
	global_store_dword v[28:29], v11, off offset:1024
.LBB27_100:
	s_or_b64 exec, exec, s[2:3]
	v_or_b32_e32 v1, 0x600, v0
	v_cmp_gt_u32_e32 vcc, s20, v1
	s_and_saveexec_b64 s[2:3], vcc
	s_cbranch_execz .LBB27_102
; %bb.101:
	v_add_co_u32_e32 v28, vcc, 0x1000, v24
	s_nop 1
	v_addc_co_u32_e32 v29, vcc, 0, v25, vcc
	s_waitcnt lgkmcnt(7)
	global_store_dword v[28:29], v16, off offset:2048
.LBB27_102:
	s_or_b64 exec, exec, s[2:3]
	v_or_b32_e32 v1, 0x700, v0
	v_cmp_gt_u32_e32 vcc, s20, v1
	s_and_saveexec_b64 s[2:3], vcc
	s_cbranch_execz .LBB27_104
; %bb.103:
	v_add_co_u32_e32 v28, vcc, 0x1000, v24
	s_nop 1
	v_addc_co_u32_e32 v29, vcc, 0, v25, vcc
	s_waitcnt lgkmcnt(7)
	global_store_dword v[28:29], v17, off offset:3072
.LBB27_104:
	s_or_b64 exec, exec, s[2:3]
	v_or_b32_e32 v1, 0x800, v0
	v_cmp_gt_u32_e32 vcc, s20, v1
	s_and_saveexec_b64 s[2:3], vcc
	s_cbranch_execz .LBB27_106
; %bb.105:
	v_add_co_u32_e32 v28, vcc, 0x2000, v24
	s_nop 1
	v_addc_co_u32_e32 v29, vcc, 0, v25, vcc
	s_waitcnt lgkmcnt(6)
	global_store_dword v[28:29], v12, off
.LBB27_106:
	s_or_b64 exec, exec, s[2:3]
	v_or_b32_e32 v1, 0x900, v0
	v_cmp_gt_u32_e32 vcc, s20, v1
	s_and_saveexec_b64 s[2:3], vcc
	s_cbranch_execz .LBB27_108
; %bb.107:
	v_add_co_u32_e32 v28, vcc, 0x2000, v24
	s_nop 1
	v_addc_co_u32_e32 v29, vcc, 0, v25, vcc
	s_waitcnt lgkmcnt(6)
	global_store_dword v[28:29], v13, off offset:1024
.LBB27_108:
	s_or_b64 exec, exec, s[2:3]
	v_or_b32_e32 v1, 0xa00, v0
	v_cmp_gt_u32_e32 vcc, s20, v1
	s_and_saveexec_b64 s[2:3], vcc
	s_cbranch_execz .LBB27_110
; %bb.109:
	v_add_co_u32_e32 v28, vcc, 0x2000, v24
	s_nop 1
	v_addc_co_u32_e32 v29, vcc, 0, v25, vcc
	s_waitcnt lgkmcnt(5)
	global_store_dword v[28:29], v4, off offset:2048
.LBB27_110:
	s_or_b64 exec, exec, s[2:3]
	v_or_b32_e32 v1, 0xb00, v0
	v_cmp_gt_u32_e32 vcc, s20, v1
	s_and_saveexec_b64 s[2:3], vcc
	s_cbranch_execz .LBB27_112
; %bb.111:
	v_add_co_u32_e32 v28, vcc, 0x2000, v24
	s_nop 1
	v_addc_co_u32_e32 v29, vcc, 0, v25, vcc
	s_waitcnt lgkmcnt(5)
	global_store_dword v[28:29], v5, off offset:3072
.LBB27_112:
	;; [unrolled: 48-line block ×4, first 2 shown]
	s_or_b64 exec, exec, s[2:3]
	v_or_b32_e32 v1, 0x1400, v0
	v_cmp_gt_u32_e32 vcc, s20, v1
	s_and_saveexec_b64 s[2:3], vcc
	s_cbranch_execz .LBB27_130
; %bb.129:
	v_add_co_u32_e32 v24, vcc, 0x5000, v24
	s_nop 1
	v_addc_co_u32_e32 v25, vcc, 0, v25, vcc
	s_waitcnt lgkmcnt(0)
	global_store_dword v[24:25], v26, off
.LBB27_130:
	s_or_b64 exec, exec, s[2:3]
	s_load_dword s0, s[0:1], 0x40
	s_waitcnt lgkmcnt(0)
	s_bfe_u32 s0, s0, 0x10008
	s_cmp_eq_u32 s0, 0
	s_cbranch_scc1 .LBB27_208
; %bb.131:
	s_add_u32 s0, s20, -1
	s_addc_u32 s1, s21, -1
	s_add_u32 s2, 0, 0x30c26c00
	s_addc_u32 s3, 0, 44
	s_add_i32 s3, s3, 0xc30c2e0
	s_mul_hi_u32 s9, s2, 0xffffffeb
	s_sub_i32 s9, s9, s2
	s_mul_i32 s10, s3, 0xffffffeb
	s_mul_i32 s4, s2, 0xffffffeb
	s_add_i32 s9, s9, s10
	s_mul_hi_u32 s5, s3, s4
	s_mul_i32 s8, s3, s4
	s_mul_i32 s11, s2, s9
	s_mul_hi_u32 s4, s2, s4
	s_mul_hi_u32 s10, s2, s9
	s_add_u32 s4, s4, s11
	s_addc_u32 s10, 0, s10
	s_add_u32 s4, s4, s8
	s_mul_hi_u32 s11, s3, s9
	s_addc_u32 s4, s10, s5
	s_addc_u32 s5, s11, 0
	s_mul_i32 s8, s3, s9
	s_add_u32 s4, s4, s8
	v_mov_b32_e32 v2, s4
	s_addc_u32 s5, 0, s5
	v_add_co_u32_e32 v2, vcc, s2, v2
	s_cmp_lg_u64 vcc, 0
	s_addc_u32 s2, s3, s5
	v_readfirstlane_b32 s5, v2
	s_mul_i32 s4, s0, s2
	s_mul_hi_u32 s8, s0, s5
	s_mul_hi_u32 s3, s0, s2
	s_add_u32 s4, s8, s4
	s_addc_u32 s3, 0, s3
	s_mul_hi_u32 s9, s1, s5
	s_mul_i32 s5, s1, s5
	s_add_u32 s4, s4, s5
	s_mul_hi_u32 s8, s1, s2
	s_addc_u32 s3, s3, s9
	s_addc_u32 s4, s8, 0
	s_mul_i32 s2, s1, s2
	s_add_u32 s2, s3, s2
	s_addc_u32 s3, 0, s4
	s_add_u32 s4, s2, 1
	s_addc_u32 s5, s3, 0
	s_add_u32 s8, s2, 2
	s_mul_i32 s10, s3, 21
	s_mul_hi_u32 s11, s2, 21
	s_addc_u32 s9, s3, 0
	s_add_i32 s11, s11, s10
	s_mul_i32 s10, s2, 21
	v_mov_b32_e32 v2, s10
	v_sub_co_u32_e32 v2, vcc, s0, v2
	s_cmp_lg_u64 vcc, 0
	v_mov_b32_e32 v1, v3
	s_subb_u32 s10, s1, s11
	v_subrev_co_u32_e32 v3, vcc, 21, v2
	s_cmp_lg_u64 vcc, 0
	s_subb_u32 s11, s10, 0
	v_readfirstlane_b32 s12, v3
	s_cmp_gt_u32 s12, 20
	s_cselect_b32 s12, -1, 0
	s_cmp_eq_u32 s11, 0
	s_cselect_b32 s11, s12, -1
	s_cmp_lg_u32 s11, 0
	s_cselect_b32 s4, s8, s4
	v_readfirstlane_b32 s8, v2
	s_cselect_b32 s5, s9, s5
	s_cmp_gt_u32 s8, 20
	s_cselect_b32 s8, -1, 0
	s_cmp_eq_u32 s10, 0
	s_cselect_b32 s8, s8, -1
	s_cmp_lg_u32 s8, 0
	s_cselect_b32 s3, s5, s3
	s_cselect_b32 s2, s4, s2
	v_cmp_eq_u64_e32 vcc, s[2:3], v[0:1]
	s_and_saveexec_b64 s[2:3], vcc
	s_cbranch_execz .LBB27_208
; %bb.132:
	v_mul_hi_u32_u24_e32 v1, 21, v0
	v_mov_b32_e32 v2, s1
	v_sub_co_u32_e32 v0, vcc, s0, v34
	s_nop 1
	v_subb_co_u32_e32 v1, vcc, v2, v1, vcc
	v_cmp_lt_i64_e32 vcc, 10, v[0:1]
	s_and_saveexec_b64 s[0:1], vcc
	s_xor_b64 s[0:1], exec, s[0:1]
	s_cbranch_execz .LBB27_170
; %bb.133:
	v_cmp_lt_i64_e32 vcc, 15, v[0:1]
	s_and_saveexec_b64 s[2:3], vcc
	s_xor_b64 s[2:3], exec, s[2:3]
	s_cbranch_execz .LBB27_151
; %bb.134:
	;; [unrolled: 5-line block ×5, first 2 shown]
	v_mov_b32_e32 v0, 0
	global_store_dword v0, v26, s[6:7]
                                        ; implicit-def: $vgpr20_vgpr21
.LBB27_138:
	s_andn2_saveexec_b64 s[10:11], s[10:11]
	s_cbranch_execz .LBB27_140
; %bb.139:
	v_mov_b32_e32 v0, 0
	global_store_dword v0, v21, s[6:7]
.LBB27_140:
	s_or_b64 exec, exec, s[10:11]
                                        ; implicit-def: $vgpr20_vgpr21
.LBB27_141:
	s_andn2_saveexec_b64 s[8:9], s[8:9]
	s_cbranch_execz .LBB27_143
; %bb.142:
	v_mov_b32_e32 v0, 0
	global_store_dword v0, v20, s[6:7]
.LBB27_143:
	s_or_b64 exec, exec, s[8:9]
                                        ; implicit-def: $vgpr22_vgpr23
                                        ; implicit-def: $vgpr0_vgpr1
.LBB27_144:
	s_andn2_saveexec_b64 s[4:5], s[4:5]
	s_cbranch_execz .LBB27_150
; %bb.145:
	v_cmp_lt_i64_e32 vcc, 16, v[0:1]
	s_and_saveexec_b64 s[8:9], vcc
	s_xor_b64 s[8:9], exec, s[8:9]
	s_cbranch_execz .LBB27_147
; %bb.146:
	v_mov_b32_e32 v0, 0
	global_store_dword v0, v23, s[6:7]
                                        ; implicit-def: $vgpr22_vgpr23
.LBB27_147:
	s_andn2_saveexec_b64 s[8:9], s[8:9]
	s_cbranch_execz .LBB27_149
; %bb.148:
	v_mov_b32_e32 v0, 0
	global_store_dword v0, v22, s[6:7]
.LBB27_149:
	s_or_b64 exec, exec, s[8:9]
.LBB27_150:
	s_or_b64 exec, exec, s[4:5]
                                        ; implicit-def: $vgpr0_vgpr1
                                        ; implicit-def: $vgpr4_vgpr5
                                        ; implicit-def: $vgpr14_vgpr15
                                        ; implicit-def: $vgpr18_vgpr19
.LBB27_151:
	s_andn2_saveexec_b64 s[2:3], s[2:3]
	s_cbranch_execz .LBB27_169
; %bb.152:
	v_cmp_lt_i64_e32 vcc, 12, v[0:1]
	s_and_saveexec_b64 s[4:5], vcc
	s_xor_b64 s[4:5], exec, s[4:5]
	s_cbranch_execz .LBB27_162
; %bb.153:
	v_cmp_lt_i64_e32 vcc, 13, v[0:1]
	s_and_saveexec_b64 s[8:9], vcc
	s_xor_b64 s[8:9], exec, s[8:9]
	;; [unrolled: 5-line block ×3, first 2 shown]
	s_cbranch_execz .LBB27_156
; %bb.155:
	v_mov_b32_e32 v0, 0
	global_store_dword v0, v19, s[6:7]
                                        ; implicit-def: $vgpr18_vgpr19
.LBB27_156:
	s_andn2_saveexec_b64 s[10:11], s[10:11]
	s_cbranch_execz .LBB27_158
; %bb.157:
	v_mov_b32_e32 v0, 0
	global_store_dword v0, v18, s[6:7]
.LBB27_158:
	s_or_b64 exec, exec, s[10:11]
                                        ; implicit-def: $vgpr14_vgpr15
.LBB27_159:
	s_andn2_saveexec_b64 s[8:9], s[8:9]
	s_cbranch_execz .LBB27_161
; %bb.160:
	v_mov_b32_e32 v0, 0
	global_store_dword v0, v15, s[6:7]
.LBB27_161:
	s_or_b64 exec, exec, s[8:9]
                                        ; implicit-def: $vgpr4_vgpr5
                                        ; implicit-def: $vgpr0_vgpr1
                                        ; implicit-def: $vgpr14_vgpr15
.LBB27_162:
	s_andn2_saveexec_b64 s[4:5], s[4:5]
	s_cbranch_execz .LBB27_168
; %bb.163:
	v_cmp_lt_i64_e32 vcc, 11, v[0:1]
	s_and_saveexec_b64 s[8:9], vcc
	s_xor_b64 s[8:9], exec, s[8:9]
	s_cbranch_execz .LBB27_165
; %bb.164:
	v_mov_b32_e32 v0, 0
	global_store_dword v0, v14, s[6:7]
                                        ; implicit-def: $vgpr4_vgpr5
.LBB27_165:
	s_andn2_saveexec_b64 s[8:9], s[8:9]
	s_cbranch_execz .LBB27_167
; %bb.166:
	v_mov_b32_e32 v0, 0
	global_store_dword v0, v5, s[6:7]
.LBB27_167:
	s_or_b64 exec, exec, s[8:9]
.LBB27_168:
	s_or_b64 exec, exec, s[4:5]
.LBB27_169:
	s_or_b64 exec, exec, s[2:3]
                                        ; implicit-def: $vgpr0_vgpr1
                                        ; implicit-def: $vgpr16_vgpr17
                                        ; implicit-def: $vgpr8_vgpr9
                                        ; implicit-def: $vgpr6_vgpr7
                                        ; implicit-def: $vgpr12_vgpr13
                                        ; implicit-def: $vgpr10_vgpr11
                                        ; implicit-def: $vgpr4_vgpr5
.LBB27_170:
	s_andn2_saveexec_b64 s[0:1], s[0:1]
	s_cbranch_execz .LBB27_208
; %bb.171:
	v_cmp_lt_i64_e32 vcc, 5, v[0:1]
	s_and_saveexec_b64 s[0:1], vcc
	s_xor_b64 s[0:1], exec, s[0:1]
	s_cbranch_execz .LBB27_189
; %bb.172:
	v_cmp_lt_i64_e32 vcc, 7, v[0:1]
	s_and_saveexec_b64 s[2:3], vcc
	s_xor_b64 s[2:3], exec, s[2:3]
	;; [unrolled: 5-line block ×4, first 2 shown]
	s_cbranch_execz .LBB27_176
; %bb.175:
	v_mov_b32_e32 v0, 0
	global_store_dword v0, v4, s[6:7]
                                        ; implicit-def: $vgpr12_vgpr13
.LBB27_176:
	s_andn2_saveexec_b64 s[8:9], s[8:9]
	s_cbranch_execz .LBB27_178
; %bb.177:
	v_mov_b32_e32 v0, 0
	global_store_dword v0, v13, s[6:7]
.LBB27_178:
	s_or_b64 exec, exec, s[8:9]
                                        ; implicit-def: $vgpr12_vgpr13
.LBB27_179:
	s_andn2_saveexec_b64 s[4:5], s[4:5]
	s_cbranch_execz .LBB27_181
; %bb.180:
	v_mov_b32_e32 v0, 0
	global_store_dword v0, v12, s[6:7]
.LBB27_181:
	s_or_b64 exec, exec, s[4:5]
                                        ; implicit-def: $vgpr16_vgpr17
                                        ; implicit-def: $vgpr0_vgpr1
.LBB27_182:
	s_andn2_saveexec_b64 s[2:3], s[2:3]
	s_cbranch_execz .LBB27_188
; %bb.183:
	v_cmp_lt_i64_e32 vcc, 6, v[0:1]
	s_and_saveexec_b64 s[4:5], vcc
	s_xor_b64 s[4:5], exec, s[4:5]
	s_cbranch_execz .LBB27_185
; %bb.184:
	v_mov_b32_e32 v0, 0
	global_store_dword v0, v17, s[6:7]
                                        ; implicit-def: $vgpr16_vgpr17
.LBB27_185:
	s_andn2_saveexec_b64 s[4:5], s[4:5]
	s_cbranch_execz .LBB27_187
; %bb.186:
	v_mov_b32_e32 v0, 0
	global_store_dword v0, v16, s[6:7]
.LBB27_187:
	s_or_b64 exec, exec, s[4:5]
.LBB27_188:
	s_or_b64 exec, exec, s[2:3]
                                        ; implicit-def: $vgpr0_vgpr1
                                        ; implicit-def: $vgpr8_vgpr9
                                        ; implicit-def: $vgpr6_vgpr7
                                        ; implicit-def: $vgpr10_vgpr11
.LBB27_189:
	s_andn2_saveexec_b64 s[0:1], s[0:1]
	s_cbranch_execz .LBB27_208
; %bb.190:
	v_cmp_lt_i64_e32 vcc, 2, v[0:1]
	s_and_saveexec_b64 s[0:1], vcc
	s_xor_b64 s[0:1], exec, s[0:1]
	s_cbranch_execz .LBB27_200
; %bb.191:
	v_cmp_lt_i64_e32 vcc, 3, v[0:1]
	s_and_saveexec_b64 s[2:3], vcc
	s_xor_b64 s[2:3], exec, s[2:3]
	;; [unrolled: 5-line block ×3, first 2 shown]
	s_cbranch_execz .LBB27_194
; %bb.193:
	v_mov_b32_e32 v0, 0
	global_store_dword v0, v11, s[6:7]
                                        ; implicit-def: $vgpr10_vgpr11
.LBB27_194:
	s_andn2_saveexec_b64 s[4:5], s[4:5]
	s_cbranch_execz .LBB27_196
; %bb.195:
	v_mov_b32_e32 v0, 0
	global_store_dword v0, v10, s[6:7]
.LBB27_196:
	s_or_b64 exec, exec, s[4:5]
                                        ; implicit-def: $vgpr8_vgpr9
.LBB27_197:
	s_andn2_saveexec_b64 s[2:3], s[2:3]
	s_cbranch_execz .LBB27_199
; %bb.198:
	v_mov_b32_e32 v0, 0
	global_store_dword v0, v9, s[6:7]
.LBB27_199:
	s_or_b64 exec, exec, s[2:3]
                                        ; implicit-def: $vgpr0_vgpr1
                                        ; implicit-def: $vgpr8_vgpr9
                                        ; implicit-def: $vgpr6_vgpr7
.LBB27_200:
	s_andn2_saveexec_b64 s[0:1], s[0:1]
	s_cbranch_execz .LBB27_208
; %bb.201:
	v_cmp_lt_i64_e32 vcc, 1, v[0:1]
	s_and_saveexec_b64 s[0:1], vcc
	s_xor_b64 s[0:1], exec, s[0:1]
	s_cbranch_execz .LBB27_203
; %bb.202:
	v_mov_b32_e32 v0, 0
	global_store_dword v0, v8, s[6:7]
                                        ; implicit-def: $vgpr6_vgpr7
                                        ; implicit-def: $vgpr0_vgpr1
.LBB27_203:
	s_andn2_saveexec_b64 s[0:1], s[0:1]
	s_cbranch_execz .LBB27_208
; %bb.204:
	v_cmp_ne_u64_e32 vcc, 1, v[0:1]
	s_and_saveexec_b64 s[0:1], vcc
	s_xor_b64 s[0:1], exec, s[0:1]
	s_cbranch_execz .LBB27_206
; %bb.205:
	v_mov_b32_e32 v0, 0
	global_store_dword v0, v6, s[6:7]
                                        ; implicit-def: $vgpr6_vgpr7
.LBB27_206:
	s_andn2_saveexec_b64 s[0:1], s[0:1]
	s_cbranch_execz .LBB27_208
; %bb.207:
	v_mov_b32_e32 v0, 0
	global_store_dword v0, v7, s[6:7]
.LBB27_208:
	s_endpgm
	.section	.rodata,"a",@progbits
	.p2align	6, 0x0
	.amdhsa_kernel _ZN7rocprim17ROCPRIM_304000_NS6detail20lookback_scan_kernelILNS1_25lookback_scan_determinismE0ELb0ENS1_19wrapped_scan_configINS0_14default_configEiEEPKiPiSt4plusIiEiiNS1_19lookback_scan_stateIiLb0ELb1EEEEEvT2_T3_mT5_T4_T7_jPT6_SK_bb
		.amdhsa_group_segment_fixed_size 21504
		.amdhsa_private_segment_fixed_size 0
		.amdhsa_kernarg_size 68
		.amdhsa_user_sgpr_count 2
		.amdhsa_user_sgpr_dispatch_ptr 0
		.amdhsa_user_sgpr_queue_ptr 0
		.amdhsa_user_sgpr_kernarg_segment_ptr 1
		.amdhsa_user_sgpr_dispatch_id 0
		.amdhsa_user_sgpr_kernarg_preload_length 0
		.amdhsa_user_sgpr_kernarg_preload_offset 0
		.amdhsa_user_sgpr_private_segment_size 0
		.amdhsa_uses_dynamic_stack 0
		.amdhsa_enable_private_segment 0
		.amdhsa_system_sgpr_workgroup_id_x 1
		.amdhsa_system_sgpr_workgroup_id_y 0
		.amdhsa_system_sgpr_workgroup_id_z 0
		.amdhsa_system_sgpr_workgroup_info 0
		.amdhsa_system_vgpr_workitem_id 0
		.amdhsa_next_free_vgpr 53
		.amdhsa_next_free_sgpr 24
		.amdhsa_accum_offset 56
		.amdhsa_reserve_vcc 1
		.amdhsa_float_round_mode_32 0
		.amdhsa_float_round_mode_16_64 0
		.amdhsa_float_denorm_mode_32 3
		.amdhsa_float_denorm_mode_16_64 3
		.amdhsa_dx10_clamp 1
		.amdhsa_ieee_mode 1
		.amdhsa_fp16_overflow 0
		.amdhsa_tg_split 0
		.amdhsa_exception_fp_ieee_invalid_op 0
		.amdhsa_exception_fp_denorm_src 0
		.amdhsa_exception_fp_ieee_div_zero 0
		.amdhsa_exception_fp_ieee_overflow 0
		.amdhsa_exception_fp_ieee_underflow 0
		.amdhsa_exception_fp_ieee_inexact 0
		.amdhsa_exception_int_div_zero 0
	.end_amdhsa_kernel
	.section	.text._ZN7rocprim17ROCPRIM_304000_NS6detail20lookback_scan_kernelILNS1_25lookback_scan_determinismE0ELb0ENS1_19wrapped_scan_configINS0_14default_configEiEEPKiPiSt4plusIiEiiNS1_19lookback_scan_stateIiLb0ELb1EEEEEvT2_T3_mT5_T4_T7_jPT6_SK_bb,"axG",@progbits,_ZN7rocprim17ROCPRIM_304000_NS6detail20lookback_scan_kernelILNS1_25lookback_scan_determinismE0ELb0ENS1_19wrapped_scan_configINS0_14default_configEiEEPKiPiSt4plusIiEiiNS1_19lookback_scan_stateIiLb0ELb1EEEEEvT2_T3_mT5_T4_T7_jPT6_SK_bb,comdat
.Lfunc_end27:
	.size	_ZN7rocprim17ROCPRIM_304000_NS6detail20lookback_scan_kernelILNS1_25lookback_scan_determinismE0ELb0ENS1_19wrapped_scan_configINS0_14default_configEiEEPKiPiSt4plusIiEiiNS1_19lookback_scan_stateIiLb0ELb1EEEEEvT2_T3_mT5_T4_T7_jPT6_SK_bb, .Lfunc_end27-_ZN7rocprim17ROCPRIM_304000_NS6detail20lookback_scan_kernelILNS1_25lookback_scan_determinismE0ELb0ENS1_19wrapped_scan_configINS0_14default_configEiEEPKiPiSt4plusIiEiiNS1_19lookback_scan_stateIiLb0ELb1EEEEEvT2_T3_mT5_T4_T7_jPT6_SK_bb
                                        ; -- End function
	.section	.AMDGPU.csdata,"",@progbits
; Kernel info:
; codeLenInByte = 7016
; NumSgprs: 30
; NumVgprs: 53
; NumAgprs: 0
; TotalNumVgprs: 53
; ScratchSize: 0
; MemoryBound: 0
; FloatMode: 240
; IeeeMode: 1
; LDSByteSize: 21504 bytes/workgroup (compile time only)
; SGPRBlocks: 3
; VGPRBlocks: 6
; NumSGPRsForWavesPerEU: 30
; NumVGPRsForWavesPerEU: 53
; AccumOffset: 56
; Occupancy: 3
; WaveLimiterHint : 1
; COMPUTE_PGM_RSRC2:SCRATCH_EN: 0
; COMPUTE_PGM_RSRC2:USER_SGPR: 2
; COMPUTE_PGM_RSRC2:TRAP_HANDLER: 0
; COMPUTE_PGM_RSRC2:TGID_X_EN: 1
; COMPUTE_PGM_RSRC2:TGID_Y_EN: 0
; COMPUTE_PGM_RSRC2:TGID_Z_EN: 0
; COMPUTE_PGM_RSRC2:TIDIG_COMP_CNT: 0
; COMPUTE_PGM_RSRC3_GFX90A:ACCUM_OFFSET: 13
; COMPUTE_PGM_RSRC3_GFX90A:TG_SPLIT: 0
	.section	.text._ZN7rocprim17ROCPRIM_304000_NS6detail16transform_kernelINS1_24wrapped_transform_configINS0_14default_configEiEEiPiS6_NS0_8identityIiEEEEvT1_mT2_T3_,"axG",@progbits,_ZN7rocprim17ROCPRIM_304000_NS6detail16transform_kernelINS1_24wrapped_transform_configINS0_14default_configEiEEiPiS6_NS0_8identityIiEEEEvT1_mT2_T3_,comdat
	.protected	_ZN7rocprim17ROCPRIM_304000_NS6detail16transform_kernelINS1_24wrapped_transform_configINS0_14default_configEiEEiPiS6_NS0_8identityIiEEEEvT1_mT2_T3_ ; -- Begin function _ZN7rocprim17ROCPRIM_304000_NS6detail16transform_kernelINS1_24wrapped_transform_configINS0_14default_configEiEEiPiS6_NS0_8identityIiEEEEvT1_mT2_T3_
	.globl	_ZN7rocprim17ROCPRIM_304000_NS6detail16transform_kernelINS1_24wrapped_transform_configINS0_14default_configEiEEiPiS6_NS0_8identityIiEEEEvT1_mT2_T3_
	.p2align	8
	.type	_ZN7rocprim17ROCPRIM_304000_NS6detail16transform_kernelINS1_24wrapped_transform_configINS0_14default_configEiEEiPiS6_NS0_8identityIiEEEEvT1_mT2_T3_,@function
_ZN7rocprim17ROCPRIM_304000_NS6detail16transform_kernelINS1_24wrapped_transform_configINS0_14default_configEiEEiPiS6_NS0_8identityIiEEEEvT1_mT2_T3_: ; @_ZN7rocprim17ROCPRIM_304000_NS6detail16transform_kernelINS1_24wrapped_transform_configINS0_14default_configEiEEiPiS6_NS0_8identityIiEEEEvT1_mT2_T3_
; %bb.0:
	s_load_dword s3, s[0:1], 0x20
	s_load_dwordx4 s[4:7], s[0:1], 0x0
	s_load_dwordx2 s[8:9], s[0:1], 0x10
	s_lshl_b32 s0, s2, 10
	s_mov_b32 s1, 0
	s_waitcnt lgkmcnt(0)
	s_add_i32 s3, s3, -1
	s_lshl_b64 s[10:11], s[0:1], 2
	s_add_u32 s4, s4, s10
	s_addc_u32 s5, s5, s11
	v_mov_b32_e32 v7, 0
	v_lshlrev_b32_e32 v6, 2, v0
	s_cmp_lg_u32 s2, s3
	v_lshl_add_u64 v[8:9], s[4:5], 0, v[6:7]
	s_cbranch_scc0 .LBB28_2
; %bb.1:
	global_load_dword v2, v[8:9], off
	global_load_dword v3, v[8:9], off offset:1024
	global_load_dword v4, v[8:9], off offset:2048
	;; [unrolled: 1-line block ×3, first 2 shown]
	s_add_u32 s4, s8, s10
	s_addc_u32 s5, s9, s11
	s_mov_b64 s[12:13], -1
	s_waitcnt vmcnt(3)
	global_store_dword v6, v2, s[4:5]
	s_waitcnt vmcnt(3)
	global_store_dword v6, v3, s[4:5] offset:1024
	s_waitcnt vmcnt(3)
	global_store_dword v6, v4, s[4:5] offset:2048
	s_cbranch_execz .LBB28_3
	s_branch .LBB28_17
.LBB28_2:
	s_mov_b64 s[12:13], 0
                                        ; implicit-def: $vgpr1
.LBB28_3:
	s_sub_i32 s6, s6, s0
	v_cmp_gt_u32_e32 vcc, s6, v0
                                        ; implicit-def: $vgpr2_vgpr3_vgpr4_vgpr5
	s_and_saveexec_b64 s[0:1], vcc
	s_cbranch_execz .LBB28_5
; %bb.4:
	global_load_dword v2, v[8:9], off
.LBB28_5:
	s_or_b64 exec, exec, s[0:1]
	s_waitcnt vmcnt(3)
	v_or_b32_e32 v1, 0x100, v0
	v_cmp_gt_u32_e64 s[0:1], s6, v1
	s_and_saveexec_b64 s[2:3], s[0:1]
	s_cbranch_execz .LBB28_7
; %bb.6:
	global_load_dword v3, v[8:9], off offset:1024
.LBB28_7:
	s_or_b64 exec, exec, s[2:3]
	v_or_b32_e32 v1, 0x200, v0
	v_cmp_gt_u32_e64 s[2:3], s6, v1
	s_and_saveexec_b64 s[4:5], s[2:3]
	s_cbranch_execz .LBB28_9
; %bb.8:
	global_load_dword v4, v[8:9], off offset:2048
.LBB28_9:
	s_or_b64 exec, exec, s[4:5]
	;; [unrolled: 8-line block ×3, first 2 shown]
	s_add_u32 s6, s8, s10
	s_addc_u32 s7, s9, s11
	v_mov_b32_e32 v7, 0
	v_lshl_add_u64 v[0:1], s[6:7], 0, v[6:7]
	s_and_saveexec_b64 s[6:7], vcc
	s_cbranch_execnz .LBB28_20
; %bb.12:
	s_or_b64 exec, exec, s[6:7]
	s_and_saveexec_b64 s[6:7], s[0:1]
	s_cbranch_execnz .LBB28_21
.LBB28_13:
	s_or_b64 exec, exec, s[6:7]
	s_and_saveexec_b64 s[0:1], s[2:3]
	s_cbranch_execnz .LBB28_22
.LBB28_14:
	s_or_b64 exec, exec, s[0:1]
                                        ; implicit-def: $vgpr1
	s_and_saveexec_b64 s[0:1], s[4:5]
	s_cbranch_execz .LBB28_16
.LBB28_15:
	s_waitcnt vmcnt(0)
	v_cndmask_b32_e64 v1, v5, v5, s[4:5]
	s_or_b64 s[12:13], s[12:13], exec
.LBB28_16:
	s_or_b64 exec, exec, s[0:1]
.LBB28_17:
	s_and_saveexec_b64 s[0:1], s[12:13]
	s_cbranch_execnz .LBB28_19
; %bb.18:
	s_endpgm
.LBB28_19:
	s_add_u32 s0, s8, s10
	s_addc_u32 s1, s9, s11
	s_waitcnt vmcnt(3)
	global_store_dword v6, v1, s[0:1] offset:3072
	s_endpgm
.LBB28_20:
	s_waitcnt vmcnt(0)
	global_store_dword v[0:1], v2, off
	s_or_b64 exec, exec, s[6:7]
	s_and_saveexec_b64 s[6:7], s[0:1]
	s_cbranch_execz .LBB28_13
.LBB28_21:
	s_waitcnt vmcnt(0)
	global_store_dword v[0:1], v3, off offset:1024
	s_or_b64 exec, exec, s[6:7]
	s_and_saveexec_b64 s[0:1], s[2:3]
	s_cbranch_execz .LBB28_14
.LBB28_22:
	s_waitcnt vmcnt(0)
	v_cndmask_b32_e64 v2, v4, v4, s[2:3]
	global_store_dword v[0:1], v2, off offset:2048
	s_or_b64 exec, exec, s[0:1]
                                        ; implicit-def: $vgpr1
	s_and_saveexec_b64 s[0:1], s[4:5]
	s_cbranch_execnz .LBB28_15
	s_branch .LBB28_16
	.section	.rodata,"a",@progbits
	.p2align	6, 0x0
	.amdhsa_kernel _ZN7rocprim17ROCPRIM_304000_NS6detail16transform_kernelINS1_24wrapped_transform_configINS0_14default_configEiEEiPiS6_NS0_8identityIiEEEEvT1_mT2_T3_
		.amdhsa_group_segment_fixed_size 0
		.amdhsa_private_segment_fixed_size 0
		.amdhsa_kernarg_size 288
		.amdhsa_user_sgpr_count 2
		.amdhsa_user_sgpr_dispatch_ptr 0
		.amdhsa_user_sgpr_queue_ptr 0
		.amdhsa_user_sgpr_kernarg_segment_ptr 1
		.amdhsa_user_sgpr_dispatch_id 0
		.amdhsa_user_sgpr_kernarg_preload_length 0
		.amdhsa_user_sgpr_kernarg_preload_offset 0
		.amdhsa_user_sgpr_private_segment_size 0
		.amdhsa_uses_dynamic_stack 0
		.amdhsa_enable_private_segment 0
		.amdhsa_system_sgpr_workgroup_id_x 1
		.amdhsa_system_sgpr_workgroup_id_y 0
		.amdhsa_system_sgpr_workgroup_id_z 0
		.amdhsa_system_sgpr_workgroup_info 0
		.amdhsa_system_vgpr_workitem_id 0
		.amdhsa_next_free_vgpr 10
		.amdhsa_next_free_sgpr 14
		.amdhsa_accum_offset 12
		.amdhsa_reserve_vcc 1
		.amdhsa_float_round_mode_32 0
		.amdhsa_float_round_mode_16_64 0
		.amdhsa_float_denorm_mode_32 3
		.amdhsa_float_denorm_mode_16_64 3
		.amdhsa_dx10_clamp 1
		.amdhsa_ieee_mode 1
		.amdhsa_fp16_overflow 0
		.amdhsa_tg_split 0
		.amdhsa_exception_fp_ieee_invalid_op 0
		.amdhsa_exception_fp_denorm_src 0
		.amdhsa_exception_fp_ieee_div_zero 0
		.amdhsa_exception_fp_ieee_overflow 0
		.amdhsa_exception_fp_ieee_underflow 0
		.amdhsa_exception_fp_ieee_inexact 0
		.amdhsa_exception_int_div_zero 0
	.end_amdhsa_kernel
	.section	.text._ZN7rocprim17ROCPRIM_304000_NS6detail16transform_kernelINS1_24wrapped_transform_configINS0_14default_configEiEEiPiS6_NS0_8identityIiEEEEvT1_mT2_T3_,"axG",@progbits,_ZN7rocprim17ROCPRIM_304000_NS6detail16transform_kernelINS1_24wrapped_transform_configINS0_14default_configEiEEiPiS6_NS0_8identityIiEEEEvT1_mT2_T3_,comdat
.Lfunc_end28:
	.size	_ZN7rocprim17ROCPRIM_304000_NS6detail16transform_kernelINS1_24wrapped_transform_configINS0_14default_configEiEEiPiS6_NS0_8identityIiEEEEvT1_mT2_T3_, .Lfunc_end28-_ZN7rocprim17ROCPRIM_304000_NS6detail16transform_kernelINS1_24wrapped_transform_configINS0_14default_configEiEEiPiS6_NS0_8identityIiEEEEvT1_mT2_T3_
                                        ; -- End function
	.section	.AMDGPU.csdata,"",@progbits
; Kernel info:
; codeLenInByte = 512
; NumSgprs: 20
; NumVgprs: 10
; NumAgprs: 0
; TotalNumVgprs: 10
; ScratchSize: 0
; MemoryBound: 0
; FloatMode: 240
; IeeeMode: 1
; LDSByteSize: 0 bytes/workgroup (compile time only)
; SGPRBlocks: 2
; VGPRBlocks: 1
; NumSGPRsForWavesPerEU: 20
; NumVGPRsForWavesPerEU: 10
; AccumOffset: 12
; Occupancy: 8
; WaveLimiterHint : 1
; COMPUTE_PGM_RSRC2:SCRATCH_EN: 0
; COMPUTE_PGM_RSRC2:USER_SGPR: 2
; COMPUTE_PGM_RSRC2:TRAP_HANDLER: 0
; COMPUTE_PGM_RSRC2:TGID_X_EN: 1
; COMPUTE_PGM_RSRC2:TGID_Y_EN: 0
; COMPUTE_PGM_RSRC2:TGID_Z_EN: 0
; COMPUTE_PGM_RSRC2:TIDIG_COMP_CNT: 0
; COMPUTE_PGM_RSRC3_GFX90A:ACCUM_OFFSET: 2
; COMPUTE_PGM_RSRC3_GFX90A:TG_SPLIT: 0
	.section	.text._ZN7rocprim17ROCPRIM_304000_NS6detail18single_scan_kernelILb0ENS1_19wrapped_scan_configINS0_14default_configEiEEPKiPiSt4plusIiEiiEEvT1_mT4_T2_T3_,"axG",@progbits,_ZN7rocprim17ROCPRIM_304000_NS6detail18single_scan_kernelILb0ENS1_19wrapped_scan_configINS0_14default_configEiEEPKiPiSt4plusIiEiiEEvT1_mT4_T2_T3_,comdat
	.protected	_ZN7rocprim17ROCPRIM_304000_NS6detail18single_scan_kernelILb0ENS1_19wrapped_scan_configINS0_14default_configEiEEPKiPiSt4plusIiEiiEEvT1_mT4_T2_T3_ ; -- Begin function _ZN7rocprim17ROCPRIM_304000_NS6detail18single_scan_kernelILb0ENS1_19wrapped_scan_configINS0_14default_configEiEEPKiPiSt4plusIiEiiEEvT1_mT4_T2_T3_
	.globl	_ZN7rocprim17ROCPRIM_304000_NS6detail18single_scan_kernelILb0ENS1_19wrapped_scan_configINS0_14default_configEiEEPKiPiSt4plusIiEiiEEvT1_mT4_T2_T3_
	.p2align	8
	.type	_ZN7rocprim17ROCPRIM_304000_NS6detail18single_scan_kernelILb0ENS1_19wrapped_scan_configINS0_14default_configEiEEPKiPiSt4plusIiEiiEEvT1_mT4_T2_T3_,@function
_ZN7rocprim17ROCPRIM_304000_NS6detail18single_scan_kernelILb0ENS1_19wrapped_scan_configINS0_14default_configEiEEPKiPiSt4plusIiEiiEEvT1_mT4_T2_T3_: ; @_ZN7rocprim17ROCPRIM_304000_NS6detail18single_scan_kernelILb0ENS1_19wrapped_scan_configINS0_14default_configEiEEPKiPiSt4plusIiEiiEEvT1_mT4_T2_T3_
; %bb.0:
	s_load_dwordx4 s[44:47], s[0:1], 0x0
	v_mov_b32_e32 v3, 0
	v_lshlrev_b32_e32 v2, 2, v0
	s_waitcnt lgkmcnt(0)
	s_load_dword s33, s[44:45], 0x0
	v_lshl_add_u64 v[4:5], s[44:45], 0, v[2:3]
	v_cmp_gt_u32_e64 s[16:17], s46, v0
	s_waitcnt lgkmcnt(0)
	v_mov_b32_e32 v1, s33
	s_and_saveexec_b64 s[2:3], s[16:17]
	s_cbranch_execz .LBB29_2
; %bb.1:
	global_load_dword v1, v[4:5], off
.LBB29_2:
	s_or_b64 exec, exec, s[2:3]
	v_or_b32_e32 v3, 0x100, v0
	v_cmp_gt_u32_e64 s[2:3], s46, v3
	v_mov_b32_e32 v3, s33
	s_and_saveexec_b64 s[4:5], s[2:3]
	s_cbranch_execz .LBB29_4
; %bb.3:
	global_load_dword v3, v[4:5], off offset:1024
.LBB29_4:
	s_or_b64 exec, exec, s[4:5]
	v_or_b32_e32 v6, 0x200, v0
	v_cmp_gt_u32_e64 s[4:5], s46, v6
	v_mov_b32_e32 v6, s33
	s_and_saveexec_b64 s[6:7], s[4:5]
	s_cbranch_execz .LBB29_6
; %bb.5:
	global_load_dword v6, v[4:5], off offset:2048
.LBB29_6:
	;; [unrolled: 9-line block ×3, first 2 shown]
	s_or_b64 exec, exec, s[8:9]
	v_or_b32_e32 v8, 0x400, v0
	v_cmp_gt_u32_e64 s[8:9], s46, v8
	v_mov_b32_e32 v8, s33
	s_and_saveexec_b64 s[10:11], s[8:9]
	s_cbranch_execz .LBB29_10
; %bb.9:
	v_add_co_u32_e32 v8, vcc, 0x1000, v4
	s_nop 1
	v_addc_co_u32_e32 v9, vcc, 0, v5, vcc
	global_load_dword v8, v[8:9], off
.LBB29_10:
	s_or_b64 exec, exec, s[10:11]
	v_or_b32_e32 v9, 0x500, v0
	v_cmp_gt_u32_e64 s[10:11], s46, v9
	v_mov_b32_e32 v9, s33
	s_and_saveexec_b64 s[12:13], s[10:11]
	s_cbranch_execz .LBB29_12
; %bb.11:
	v_add_co_u32_e32 v10, vcc, 0x1000, v4
	s_nop 1
	v_addc_co_u32_e32 v11, vcc, 0, v5, vcc
	global_load_dword v9, v[10:11], off offset:1024
.LBB29_12:
	s_or_b64 exec, exec, s[12:13]
	v_or_b32_e32 v10, 0x600, v0
	v_cmp_gt_u32_e64 s[12:13], s46, v10
	v_mov_b32_e32 v10, s33
	s_and_saveexec_b64 s[14:15], s[12:13]
	s_cbranch_execz .LBB29_14
; %bb.13:
	v_add_co_u32_e32 v10, vcc, 0x1000, v4
	s_nop 1
	v_addc_co_u32_e32 v11, vcc, 0, v5, vcc
	global_load_dword v10, v[10:11], off offset:2048
.LBB29_14:
	s_or_b64 exec, exec, s[14:15]
	v_or_b32_e32 v11, 0x700, v0
	v_cmp_gt_u32_e64 s[14:15], s46, v11
	v_mov_b32_e32 v11, s33
	s_and_saveexec_b64 s[18:19], s[14:15]
	s_cbranch_execz .LBB29_16
; %bb.15:
	v_add_co_u32_e32 v12, vcc, 0x1000, v4
	s_nop 1
	v_addc_co_u32_e32 v13, vcc, 0, v5, vcc
	global_load_dword v11, v[12:13], off offset:3072
.LBB29_16:
	s_or_b64 exec, exec, s[18:19]
	v_or_b32_e32 v12, 0x800, v0
	v_cmp_gt_u32_e64 s[18:19], s46, v12
	v_mov_b32_e32 v12, s33
	s_and_saveexec_b64 s[20:21], s[18:19]
	s_cbranch_execz .LBB29_18
; %bb.17:
	v_add_co_u32_e32 v12, vcc, 0x2000, v4
	s_nop 1
	v_addc_co_u32_e32 v13, vcc, 0, v5, vcc
	global_load_dword v12, v[12:13], off
.LBB29_18:
	s_or_b64 exec, exec, s[20:21]
	v_or_b32_e32 v13, 0x900, v0
	v_cmp_gt_u32_e64 s[20:21], s46, v13
	v_mov_b32_e32 v13, s33
	s_and_saveexec_b64 s[22:23], s[20:21]
	s_cbranch_execz .LBB29_20
; %bb.19:
	v_add_co_u32_e32 v14, vcc, 0x2000, v4
	s_nop 1
	v_addc_co_u32_e32 v15, vcc, 0, v5, vcc
	global_load_dword v13, v[14:15], off offset:1024
.LBB29_20:
	s_or_b64 exec, exec, s[22:23]
	v_or_b32_e32 v14, 0xa00, v0
	v_cmp_gt_u32_e64 s[22:23], s46, v14
	v_mov_b32_e32 v14, s33
	s_and_saveexec_b64 s[24:25], s[22:23]
	s_cbranch_execz .LBB29_22
; %bb.21:
	v_add_co_u32_e32 v14, vcc, 0x2000, v4
	s_nop 1
	v_addc_co_u32_e32 v15, vcc, 0, v5, vcc
	global_load_dword v14, v[14:15], off offset:2048
.LBB29_22:
	s_or_b64 exec, exec, s[24:25]
	v_or_b32_e32 v15, 0xb00, v0
	v_cmp_gt_u32_e64 s[24:25], s46, v15
	v_mov_b32_e32 v15, s33
	s_and_saveexec_b64 s[26:27], s[24:25]
	s_cbranch_execz .LBB29_24
; %bb.23:
	v_add_co_u32_e32 v16, vcc, 0x2000, v4
	s_nop 1
	v_addc_co_u32_e32 v17, vcc, 0, v5, vcc
	global_load_dword v15, v[16:17], off offset:3072
.LBB29_24:
	;; [unrolled: 48-line block ×4, first 2 shown]
	s_or_b64 exec, exec, s[44:45]
	v_or_b32_e32 v24, 0x1400, v0
	v_cmp_gt_u32_e64 s[44:45], s46, v24
	v_mov_b32_e32 v24, s33
	s_and_saveexec_b64 s[46:47], s[44:45]
	s_cbranch_execz .LBB29_42
; %bb.41:
	v_add_co_u32_e32 v4, vcc, 0x5000, v4
	s_nop 1
	v_addc_co_u32_e32 v5, vcc, 0, v5, vcc
	global_load_dword v24, v[4:5], off
.LBB29_42:
	s_or_b64 exec, exec, s[46:47]
	s_movk_i32 s33, 0x50
	s_waitcnt vmcnt(0)
	ds_write2st64_b32 v2, v1, v3 offset1:4
	ds_write2st64_b32 v2, v6, v7 offset0:8 offset1:12
	ds_write2st64_b32 v2, v8, v9 offset0:16 offset1:20
	ds_write2st64_b32 v2, v10, v11 offset0:24 offset1:28
	ds_write2st64_b32 v2, v12, v13 offset0:32 offset1:36
	ds_write2st64_b32 v2, v14, v15 offset0:40 offset1:44
	ds_write2st64_b32 v2, v16, v17 offset0:48 offset1:52
	ds_write2st64_b32 v2, v18, v19 offset0:56 offset1:60
	ds_write2st64_b32 v2, v20, v21 offset0:64 offset1:68
	ds_write2st64_b32 v2, v22, v23 offset0:72 offset1:76
	ds_write_b32 v2, v24 offset:20480
	v_mad_u32_u24 v1, v0, s33, v2
	s_waitcnt lgkmcnt(0)
	s_barrier
	ds_read2_b32 v[22:23], v1 offset1:1
	ds_read2_b32 v[20:21], v1 offset0:2 offset1:3
	ds_read2_b32 v[18:19], v1 offset0:4 offset1:5
	;; [unrolled: 1-line block ×9, first 2 shown]
	ds_read_b32 v1, v1 offset:80
	s_waitcnt lgkmcnt(9)
	v_add3_u32 v3, v23, v22, v20
	s_waitcnt lgkmcnt(8)
	v_add3_u32 v3, v3, v21, v18
	;; [unrolled: 2-line block ×10, first 2 shown]
	v_mbcnt_lo_u32_b32 v3, -1, 0
	v_mbcnt_hi_u32_b32 v3, -1, v3
	v_and_b32_e32 v25, 15, v3
	v_mov_b32_dpp v26, v24 row_shr:1 row_mask:0xf bank_mask:0xf
	v_cmp_ne_u32_e32 vcc, 0, v25
	s_barrier
	s_nop 0
	v_cndmask_b32_e32 v26, 0, v26, vcc
	v_add_u32_e32 v24, v26, v24
	v_cmp_lt_u32_e32 vcc, 1, v25
	s_nop 0
	v_mov_b32_dpp v26, v24 row_shr:2 row_mask:0xf bank_mask:0xf
	v_cndmask_b32_e32 v26, 0, v26, vcc
	v_add_u32_e32 v24, v24, v26
	v_cmp_lt_u32_e32 vcc, 3, v25
	s_nop 0
	v_mov_b32_dpp v26, v24 row_shr:4 row_mask:0xf bank_mask:0xf
	;; [unrolled: 5-line block ×3, first 2 shown]
	v_cndmask_b32_e32 v25, 0, v26, vcc
	v_add_u32_e32 v24, v24, v25
	v_bfe_i32 v26, v3, 4, 1
	v_cmp_lt_u32_e32 vcc, 31, v3
	v_mov_b32_dpp v25, v24 row_bcast:15 row_mask:0xf bank_mask:0xf
	v_and_b32_e32 v25, v26, v25
	v_add_u32_e32 v24, v24, v25
	v_lshrrev_b32_e32 v26, 6, v0
	s_nop 0
	v_mov_b32_dpp v25, v24 row_bcast:31 row_mask:0xf bank_mask:0xf
	v_cndmask_b32_e32 v25, 0, v25, vcc
	v_add_u32_e32 v24, v24, v25
	v_or_b32_e32 v25, 63, v0
	v_cmp_eq_u32_e32 vcc, v25, v0
	s_and_saveexec_b64 s[46:47], vcc
	s_cbranch_execz .LBB29_44
; %bb.43:
	v_lshlrev_b32_e32 v25, 2, v26
	ds_write_b32 v25, v24
.LBB29_44:
	s_or_b64 exec, exec, s[46:47]
	v_cmp_gt_u32_e32 vcc, 4, v0
	s_waitcnt lgkmcnt(0)
	s_barrier
	s_and_saveexec_b64 s[46:47], vcc
	s_cbranch_execz .LBB29_46
; %bb.45:
	ds_read_b32 v25, v2
	v_and_b32_e32 v27, 3, v3
	v_cmp_ne_u32_e32 vcc, 0, v27
	s_waitcnt lgkmcnt(0)
	v_mov_b32_dpp v28, v25 row_shr:1 row_mask:0xf bank_mask:0xf
	v_cndmask_b32_e32 v28, 0, v28, vcc
	v_add_u32_e32 v25, v28, v25
	v_cmp_lt_u32_e32 vcc, 1, v27
	s_nop 0
	v_mov_b32_dpp v28, v25 row_shr:2 row_mask:0xf bank_mask:0xf
	v_cndmask_b32_e32 v27, 0, v28, vcc
	v_add_u32_e32 v25, v25, v27
	ds_write_b32 v2, v25
.LBB29_46:
	s_or_b64 exec, exec, s[46:47]
	v_mul_u32_u24_e32 v25, 0x50, v0
	v_cmp_lt_u32_e32 vcc, 63, v0
	s_waitcnt lgkmcnt(0)
	s_barrier
	s_waitcnt lgkmcnt(0)
                                        ; implicit-def: $vgpr27
	s_and_saveexec_b64 s[46:47], vcc
	s_cbranch_execz .LBB29_48
; %bb.47:
	v_lshl_add_u32 v26, v26, 2, -4
	ds_read_b32 v27, v26
	s_waitcnt lgkmcnt(0)
	v_add_u32_e32 v24, v27, v24
.LBB29_48:
	s_or_b64 exec, exec, s[46:47]
	v_add_u32_e32 v26, -1, v3
	v_and_b32_e32 v28, 64, v3
	v_cmp_lt_i32_e32 vcc, v26, v28
	s_barrier
	s_nop 0
	v_cndmask_b32_e32 v26, v26, v3, vcc
	v_lshlrev_b32_e32 v26, 2, v26
	ds_bpermute_b32 v24, v26, v24
	v_cmp_eq_u32_e32 vcc, 0, v3
	s_waitcnt lgkmcnt(0)
	s_load_dwordx2 s[0:1], s[0:1], 0x18
	v_cndmask_b32_e32 v3, v24, v27, vcc
	v_cmp_ne_u32_e32 vcc, 0, v0
	s_nop 1
	v_cndmask_b32_e32 v0, 0, v3, vcc
	v_add_u32_e32 v0, v0, v22
	v_add_u32_e32 v3, v0, v23
	;; [unrolled: 1-line block ×22, first 2 shown]
	ds_write2_b32 v22, v0, v3 offset1:1
	ds_write2_b32 v22, v20, v21 offset0:2 offset1:3
	ds_write2_b32 v22, v18, v19 offset0:4 offset1:5
	;; [unrolled: 1-line block ×9, first 2 shown]
	ds_write_b32 v22, v1 offset:80
	s_waitcnt lgkmcnt(0)
	s_barrier
	ds_read2st64_b32 v[22:23], v2 offset0:4 offset1:8
	ds_read2st64_b32 v[20:21], v2 offset0:12 offset1:16
	;; [unrolled: 1-line block ×10, first 2 shown]
	v_mov_b32_e32 v3, 0
	v_lshl_add_u64 v[4:5], s[0:1], 0, v[2:3]
	s_and_saveexec_b64 s[0:1], s[16:17]
	s_cbranch_execnz .LBB29_70
; %bb.49:
	s_or_b64 exec, exec, s[0:1]
	s_and_saveexec_b64 s[0:1], s[2:3]
	s_cbranch_execnz .LBB29_71
.LBB29_50:
	s_or_b64 exec, exec, s[0:1]
	s_and_saveexec_b64 s[0:1], s[4:5]
	s_cbranch_execnz .LBB29_72
.LBB29_51:
	s_or_b64 exec, exec, s[0:1]
	s_and_saveexec_b64 s[0:1], s[6:7]
	s_cbranch_execnz .LBB29_73
.LBB29_52:
	s_or_b64 exec, exec, s[0:1]
	s_and_saveexec_b64 s[0:1], s[8:9]
	s_cbranch_execnz .LBB29_74
.LBB29_53:
	s_or_b64 exec, exec, s[0:1]
	s_and_saveexec_b64 s[0:1], s[10:11]
	s_cbranch_execnz .LBB29_75
.LBB29_54:
	s_or_b64 exec, exec, s[0:1]
	s_and_saveexec_b64 s[0:1], s[12:13]
	s_cbranch_execnz .LBB29_76
.LBB29_55:
	s_or_b64 exec, exec, s[0:1]
	s_and_saveexec_b64 s[0:1], s[14:15]
	s_cbranch_execnz .LBB29_77
.LBB29_56:
	s_or_b64 exec, exec, s[0:1]
	s_and_saveexec_b64 s[0:1], s[18:19]
	s_cbranch_execnz .LBB29_78
.LBB29_57:
	s_or_b64 exec, exec, s[0:1]
	s_and_saveexec_b64 s[0:1], s[20:21]
	s_cbranch_execnz .LBB29_79
.LBB29_58:
	s_or_b64 exec, exec, s[0:1]
	s_and_saveexec_b64 s[0:1], s[22:23]
	s_cbranch_execnz .LBB29_80
.LBB29_59:
	s_or_b64 exec, exec, s[0:1]
	s_and_saveexec_b64 s[0:1], s[24:25]
	s_cbranch_execnz .LBB29_81
.LBB29_60:
	s_or_b64 exec, exec, s[0:1]
	s_and_saveexec_b64 s[0:1], s[26:27]
	s_cbranch_execnz .LBB29_82
.LBB29_61:
	s_or_b64 exec, exec, s[0:1]
	s_and_saveexec_b64 s[0:1], s[28:29]
	s_cbranch_execnz .LBB29_83
.LBB29_62:
	s_or_b64 exec, exec, s[0:1]
	s_and_saveexec_b64 s[0:1], s[30:31]
	s_cbranch_execnz .LBB29_84
.LBB29_63:
	s_or_b64 exec, exec, s[0:1]
	s_and_saveexec_b64 s[0:1], s[34:35]
	s_cbranch_execnz .LBB29_85
.LBB29_64:
	s_or_b64 exec, exec, s[0:1]
	s_and_saveexec_b64 s[0:1], s[36:37]
	s_cbranch_execnz .LBB29_86
.LBB29_65:
	s_or_b64 exec, exec, s[0:1]
	s_and_saveexec_b64 s[0:1], s[38:39]
	s_cbranch_execnz .LBB29_87
.LBB29_66:
	s_or_b64 exec, exec, s[0:1]
	s_and_saveexec_b64 s[0:1], s[40:41]
	s_cbranch_execnz .LBB29_88
.LBB29_67:
	s_or_b64 exec, exec, s[0:1]
	s_and_saveexec_b64 s[0:1], s[42:43]
	s_cbranch_execnz .LBB29_89
.LBB29_68:
	s_or_b64 exec, exec, s[0:1]
	s_and_saveexec_b64 s[0:1], s[44:45]
	s_cbranch_execnz .LBB29_90
.LBB29_69:
	s_endpgm
.LBB29_70:
	ds_read_b32 v2, v2
	s_waitcnt lgkmcnt(0)
	global_store_dword v[4:5], v2, off
	s_or_b64 exec, exec, s[0:1]
	s_and_saveexec_b64 s[0:1], s[2:3]
	s_cbranch_execz .LBB29_50
.LBB29_71:
	s_waitcnt lgkmcnt(9)
	global_store_dword v[4:5], v22, off offset:1024
	s_or_b64 exec, exec, s[0:1]
	s_and_saveexec_b64 s[0:1], s[4:5]
	s_cbranch_execz .LBB29_51
.LBB29_72:
	s_waitcnt lgkmcnt(9)
	global_store_dword v[4:5], v23, off offset:2048
	s_or_b64 exec, exec, s[0:1]
	s_and_saveexec_b64 s[0:1], s[6:7]
	s_cbranch_execz .LBB29_52
.LBB29_73:
	s_waitcnt lgkmcnt(8)
	global_store_dword v[4:5], v20, off offset:3072
	s_or_b64 exec, exec, s[0:1]
	s_and_saveexec_b64 s[0:1], s[8:9]
	s_cbranch_execz .LBB29_53
.LBB29_74:
	v_add_co_u32_e32 v2, vcc, 0x1000, v4
	s_nop 1
	v_addc_co_u32_e32 v3, vcc, 0, v5, vcc
	s_waitcnt lgkmcnt(8)
	global_store_dword v[2:3], v21, off
	s_or_b64 exec, exec, s[0:1]
	s_and_saveexec_b64 s[0:1], s[10:11]
	s_cbranch_execz .LBB29_54
.LBB29_75:
	v_add_co_u32_e32 v2, vcc, 0x1000, v4
	s_nop 1
	v_addc_co_u32_e32 v3, vcc, 0, v5, vcc
	s_waitcnt lgkmcnt(7)
	global_store_dword v[2:3], v18, off offset:1024
	s_or_b64 exec, exec, s[0:1]
	s_and_saveexec_b64 s[0:1], s[12:13]
	s_cbranch_execz .LBB29_55
.LBB29_76:
	v_add_co_u32_e32 v2, vcc, 0x1000, v4
	s_nop 1
	v_addc_co_u32_e32 v3, vcc, 0, v5, vcc
	s_waitcnt lgkmcnt(7)
	global_store_dword v[2:3], v19, off offset:2048
	s_or_b64 exec, exec, s[0:1]
	s_and_saveexec_b64 s[0:1], s[14:15]
	s_cbranch_execz .LBB29_56
.LBB29_77:
	v_add_co_u32_e32 v2, vcc, 0x1000, v4
	s_nop 1
	v_addc_co_u32_e32 v3, vcc, 0, v5, vcc
	s_waitcnt lgkmcnt(6)
	global_store_dword v[2:3], v16, off offset:3072
	s_or_b64 exec, exec, s[0:1]
	s_and_saveexec_b64 s[0:1], s[18:19]
	s_cbranch_execz .LBB29_57
.LBB29_78:
	v_add_co_u32_e32 v2, vcc, 0x2000, v4
	s_nop 1
	v_addc_co_u32_e32 v3, vcc, 0, v5, vcc
	s_waitcnt lgkmcnt(6)
	global_store_dword v[2:3], v17, off
	s_or_b64 exec, exec, s[0:1]
	s_and_saveexec_b64 s[0:1], s[20:21]
	s_cbranch_execz .LBB29_58
.LBB29_79:
	v_add_co_u32_e32 v2, vcc, 0x2000, v4
	s_nop 1
	v_addc_co_u32_e32 v3, vcc, 0, v5, vcc
	s_waitcnt lgkmcnt(5)
	global_store_dword v[2:3], v14, off offset:1024
	s_or_b64 exec, exec, s[0:1]
	s_and_saveexec_b64 s[0:1], s[22:23]
	s_cbranch_execz .LBB29_59
.LBB29_80:
	v_add_co_u32_e32 v2, vcc, 0x2000, v4
	s_nop 1
	v_addc_co_u32_e32 v3, vcc, 0, v5, vcc
	s_waitcnt lgkmcnt(5)
	global_store_dword v[2:3], v15, off offset:2048
	s_or_b64 exec, exec, s[0:1]
	s_and_saveexec_b64 s[0:1], s[24:25]
	s_cbranch_execz .LBB29_60
.LBB29_81:
	v_add_co_u32_e32 v2, vcc, 0x2000, v4
	s_nop 1
	v_addc_co_u32_e32 v3, vcc, 0, v5, vcc
	s_waitcnt lgkmcnt(4)
	global_store_dword v[2:3], v12, off offset:3072
	s_or_b64 exec, exec, s[0:1]
	s_and_saveexec_b64 s[0:1], s[26:27]
	s_cbranch_execz .LBB29_61
.LBB29_82:
	v_add_co_u32_e32 v2, vcc, 0x3000, v4
	s_nop 1
	v_addc_co_u32_e32 v3, vcc, 0, v5, vcc
	s_waitcnt lgkmcnt(4)
	global_store_dword v[2:3], v13, off
	s_or_b64 exec, exec, s[0:1]
	s_and_saveexec_b64 s[0:1], s[28:29]
	s_cbranch_execz .LBB29_62
.LBB29_83:
	v_add_co_u32_e32 v2, vcc, 0x3000, v4
	s_nop 1
	v_addc_co_u32_e32 v3, vcc, 0, v5, vcc
	s_waitcnt lgkmcnt(3)
	global_store_dword v[2:3], v10, off offset:1024
	s_or_b64 exec, exec, s[0:1]
	s_and_saveexec_b64 s[0:1], s[30:31]
	s_cbranch_execz .LBB29_63
.LBB29_84:
	v_add_co_u32_e32 v2, vcc, 0x3000, v4
	s_nop 1
	v_addc_co_u32_e32 v3, vcc, 0, v5, vcc
	s_waitcnt lgkmcnt(3)
	global_store_dword v[2:3], v11, off offset:2048
	s_or_b64 exec, exec, s[0:1]
	s_and_saveexec_b64 s[0:1], s[34:35]
	s_cbranch_execz .LBB29_64
.LBB29_85:
	v_add_co_u32_e32 v2, vcc, 0x3000, v4
	s_nop 1
	v_addc_co_u32_e32 v3, vcc, 0, v5, vcc
	s_waitcnt lgkmcnt(2)
	global_store_dword v[2:3], v8, off offset:3072
	s_or_b64 exec, exec, s[0:1]
	s_and_saveexec_b64 s[0:1], s[36:37]
	s_cbranch_execz .LBB29_65
.LBB29_86:
	v_add_co_u32_e32 v2, vcc, 0x4000, v4
	s_nop 1
	v_addc_co_u32_e32 v3, vcc, 0, v5, vcc
	s_waitcnt lgkmcnt(2)
	global_store_dword v[2:3], v9, off
	s_or_b64 exec, exec, s[0:1]
	s_and_saveexec_b64 s[0:1], s[38:39]
	s_cbranch_execz .LBB29_66
.LBB29_87:
	v_add_co_u32_e32 v2, vcc, 0x4000, v4
	s_nop 1
	v_addc_co_u32_e32 v3, vcc, 0, v5, vcc
	s_waitcnt lgkmcnt(1)
	global_store_dword v[2:3], v6, off offset:1024
	s_or_b64 exec, exec, s[0:1]
	s_and_saveexec_b64 s[0:1], s[40:41]
	s_cbranch_execz .LBB29_67
.LBB29_88:
	v_add_co_u32_e32 v2, vcc, 0x4000, v4
	s_nop 1
	v_addc_co_u32_e32 v3, vcc, 0, v5, vcc
	s_waitcnt lgkmcnt(1)
	global_store_dword v[2:3], v7, off offset:2048
	s_or_b64 exec, exec, s[0:1]
	s_and_saveexec_b64 s[0:1], s[42:43]
	s_cbranch_execz .LBB29_68
.LBB29_89:
	v_add_co_u32_e32 v2, vcc, 0x4000, v4
	s_nop 1
	v_addc_co_u32_e32 v3, vcc, 0, v5, vcc
	s_waitcnt lgkmcnt(0)
	global_store_dword v[2:3], v0, off offset:3072
	s_or_b64 exec, exec, s[0:1]
	s_and_saveexec_b64 s[0:1], s[44:45]
	s_cbranch_execz .LBB29_69
.LBB29_90:
	v_add_co_u32_e32 v2, vcc, 0x5000, v4
	s_nop 1
	v_addc_co_u32_e32 v3, vcc, 0, v5, vcc
	s_waitcnt lgkmcnt(0)
	global_store_dword v[2:3], v1, off
	s_endpgm
	.section	.rodata,"a",@progbits
	.p2align	6, 0x0
	.amdhsa_kernel _ZN7rocprim17ROCPRIM_304000_NS6detail18single_scan_kernelILb0ENS1_19wrapped_scan_configINS0_14default_configEiEEPKiPiSt4plusIiEiiEEvT1_mT4_T2_T3_
		.amdhsa_group_segment_fixed_size 21504
		.amdhsa_private_segment_fixed_size 0
		.amdhsa_kernarg_size 36
		.amdhsa_user_sgpr_count 2
		.amdhsa_user_sgpr_dispatch_ptr 0
		.amdhsa_user_sgpr_queue_ptr 0
		.amdhsa_user_sgpr_kernarg_segment_ptr 1
		.amdhsa_user_sgpr_dispatch_id 0
		.amdhsa_user_sgpr_kernarg_preload_length 0
		.amdhsa_user_sgpr_kernarg_preload_offset 0
		.amdhsa_user_sgpr_private_segment_size 0
		.amdhsa_uses_dynamic_stack 0
		.amdhsa_enable_private_segment 0
		.amdhsa_system_sgpr_workgroup_id_x 1
		.amdhsa_system_sgpr_workgroup_id_y 0
		.amdhsa_system_sgpr_workgroup_id_z 0
		.amdhsa_system_sgpr_workgroup_info 0
		.amdhsa_system_vgpr_workitem_id 0
		.amdhsa_next_free_vgpr 29
		.amdhsa_next_free_sgpr 48
		.amdhsa_accum_offset 32
		.amdhsa_reserve_vcc 1
		.amdhsa_float_round_mode_32 0
		.amdhsa_float_round_mode_16_64 0
		.amdhsa_float_denorm_mode_32 3
		.amdhsa_float_denorm_mode_16_64 3
		.amdhsa_dx10_clamp 1
		.amdhsa_ieee_mode 1
		.amdhsa_fp16_overflow 0
		.amdhsa_tg_split 0
		.amdhsa_exception_fp_ieee_invalid_op 0
		.amdhsa_exception_fp_denorm_src 0
		.amdhsa_exception_fp_ieee_div_zero 0
		.amdhsa_exception_fp_ieee_overflow 0
		.amdhsa_exception_fp_ieee_underflow 0
		.amdhsa_exception_fp_ieee_inexact 0
		.amdhsa_exception_int_div_zero 0
	.end_amdhsa_kernel
	.section	.text._ZN7rocprim17ROCPRIM_304000_NS6detail18single_scan_kernelILb0ENS1_19wrapped_scan_configINS0_14default_configEiEEPKiPiSt4plusIiEiiEEvT1_mT4_T2_T3_,"axG",@progbits,_ZN7rocprim17ROCPRIM_304000_NS6detail18single_scan_kernelILb0ENS1_19wrapped_scan_configINS0_14default_configEiEEPKiPiSt4plusIiEiiEEvT1_mT4_T2_T3_,comdat
.Lfunc_end29:
	.size	_ZN7rocprim17ROCPRIM_304000_NS6detail18single_scan_kernelILb0ENS1_19wrapped_scan_configINS0_14default_configEiEEPKiPiSt4plusIiEiiEEvT1_mT4_T2_T3_, .Lfunc_end29-_ZN7rocprim17ROCPRIM_304000_NS6detail18single_scan_kernelILb0ENS1_19wrapped_scan_configINS0_14default_configEiEEPKiPiSt4plusIiEiiEEvT1_mT4_T2_T3_
                                        ; -- End function
	.section	.AMDGPU.csdata,"",@progbits
; Kernel info:
; codeLenInByte = 3192
; NumSgprs: 54
; NumVgprs: 29
; NumAgprs: 0
; TotalNumVgprs: 29
; ScratchSize: 0
; MemoryBound: 0
; FloatMode: 240
; IeeeMode: 1
; LDSByteSize: 21504 bytes/workgroup (compile time only)
; SGPRBlocks: 6
; VGPRBlocks: 3
; NumSGPRsForWavesPerEU: 54
; NumVGPRsForWavesPerEU: 29
; AccumOffset: 32
; Occupancy: 3
; WaveLimiterHint : 0
; COMPUTE_PGM_RSRC2:SCRATCH_EN: 0
; COMPUTE_PGM_RSRC2:USER_SGPR: 2
; COMPUTE_PGM_RSRC2:TRAP_HANDLER: 0
; COMPUTE_PGM_RSRC2:TGID_X_EN: 1
; COMPUTE_PGM_RSRC2:TGID_Y_EN: 0
; COMPUTE_PGM_RSRC2:TGID_Z_EN: 0
; COMPUTE_PGM_RSRC2:TIDIG_COMP_CNT: 0
; COMPUTE_PGM_RSRC3_GFX90A:ACCUM_OFFSET: 7
; COMPUTE_PGM_RSRC3_GFX90A:TG_SPLIT: 0
	.section	.text._ZN2at6native32tensor_kernel_scan_innermost_dimIiSt4plusIiEEEvPT_PKS4_jjjS4_T0_,"axG",@progbits,_ZN2at6native32tensor_kernel_scan_innermost_dimIiSt4plusIiEEEvPT_PKS4_jjjS4_T0_,comdat
	.protected	_ZN2at6native32tensor_kernel_scan_innermost_dimIiSt4plusIiEEEvPT_PKS4_jjjS4_T0_ ; -- Begin function _ZN2at6native32tensor_kernel_scan_innermost_dimIiSt4plusIiEEEvPT_PKS4_jjjS4_T0_
	.globl	_ZN2at6native32tensor_kernel_scan_innermost_dimIiSt4plusIiEEEvPT_PKS4_jjjS4_T0_
	.p2align	8
	.type	_ZN2at6native32tensor_kernel_scan_innermost_dimIiSt4plusIiEEEvPT_PKS4_jjjS4_T0_,@function
_ZN2at6native32tensor_kernel_scan_innermost_dimIiSt4plusIiEEEvPT_PKS4_jjjS4_T0_: ; @_ZN2at6native32tensor_kernel_scan_innermost_dimIiSt4plusIiEEEvPT_PKS4_jjjS4_T0_
; %bb.0:
	s_load_dwordx8 s[12:19], s[0:1], 0x0
	v_bfe_u32 v2, v0, 10, 10
	s_waitcnt lgkmcnt(0)
	s_lshl_b32 s3, 2, s18
	v_mul_lo_u32 v1, s3, v2
	s_mul_hi_u32 s4, s16, s17
	s_mov_b32 s20, s16
	v_lshl_add_u32 v18, v1, 2, 0
	s_cmp_lg_u32 s4, 0
	s_mov_b64 s[4:5], -1
	s_cbranch_scc1 .LBB30_26
; %bb.1:
	s_load_dword s6, s[0:1], 0x34
	s_add_u32 s4, s0, 40
	s_addc_u32 s5, s1, 0
	s_waitcnt lgkmcnt(0)
	s_lshr_b32 s6, s6, 16
	s_mul_i32 s21, s2, s6
	s_cmp_ge_u32 s21, s16
	s_cbranch_scc1 .LBB30_25
; %bb.2:
	s_load_dword s27, s[4:5], 0x0
	s_lshl_b32 s26, 1, s18
	s_cmp_lg_u32 s17, 0
	v_and_b32_e32 v1, 0x3ff, v0
	s_cselect_b64 s[4:5], -1, 0
	v_lshl_add_u32 v3, v1, 2, v18
	v_add_u32_e32 v13, -4, v18
	v_cndmask_b32_e64 v4, 0, 1, s[4:5]
	v_lshl_add_u32 v12, s26, 2, v3
	v_cmp_eq_u32_e64 s[8:9], 0, v1
	v_lshl_add_u32 v14, s3, 2, v13
	s_waitcnt lgkmcnt(0)
	s_mul_i32 s27, s27, s6
	s_add_i32 s28, s18, 1
	v_cmp_ne_u32_e64 s[4:5], 1, v4
	v_mov_b32_e32 v5, 0
	s_branch .LBB30_4
.LBB30_3:                               ;   in Loop: Header=BB30_4 Depth=1
	s_add_i32 s21, s21, s27
	s_cmp_ge_u32 s21, s16
	s_cbranch_scc1 .LBB30_25
.LBB30_4:                               ; =>This Loop Header: Depth=1
                                        ;     Child Loop BB30_7 Depth 2
                                        ;       Child Loop BB30_16 Depth 3
	s_and_b64 vcc, exec, s[4:5]
	s_cbranch_vccnz .LBB30_3
; %bb.5:                                ;   in Loop: Header=BB30_4 Depth=1
	v_add_u32_e32 v10, s21, v2
	v_mul_lo_u32 v4, v10, s17
	v_lshlrev_b64 v[8:9], 2, v[4:5]
	v_lshl_add_u64 v[6:7], s[14:15], 0, v[8:9]
	v_lshl_add_u64 v[8:9], s[12:13], 0, v[8:9]
	v_cmp_gt_u32_e32 vcc, s16, v10
	v_cmp_le_u32_e64 s[6:7], s16, v10
	s_mov_b32 s29, 0
	v_mov_b32_e32 v15, s19
	s_branch .LBB30_7
.LBB30_6:                               ;   in Loop: Header=BB30_7 Depth=2
	s_or_b64 exec, exec, s[22:23]
	ds_read_b32 v15, v14
	s_add_i32 s29, s29, s3
	s_cmp_ge_u32 s29, s17
	s_waitcnt lgkmcnt(0)
	s_barrier
	s_cbranch_scc1 .LBB30_3
.LBB30_7:                               ;   Parent Loop BB30_4 Depth=1
                                        ; =>  This Loop Header: Depth=2
                                        ;       Child Loop BB30_16 Depth 3
	v_add_u32_e32 v4, s29, v1
	v_add_u32_e32 v10, s26, v4
	s_and_saveexec_b64 s[22:23], vcc
	s_cbranch_execz .LBB30_14
; %bb.8:                                ;   in Loop: Header=BB30_7 Depth=2
	v_cmp_gt_u32_e64 s[10:11], s17, v4
	v_mov_b32_e32 v11, s19
	s_and_saveexec_b64 s[24:25], s[10:11]
	s_cbranch_execz .LBB30_10
; %bb.9:                                ;   in Loop: Header=BB30_7 Depth=2
	v_lshl_add_u64 v[16:17], v[4:5], 2, v[6:7]
	global_load_dword v11, v[16:17], off
.LBB30_10:                              ;   in Loop: Header=BB30_7 Depth=2
	s_or_b64 exec, exec, s[24:25]
	s_waitcnt vmcnt(0)
	ds_write_b32 v3, v11
	v_cmp_gt_u32_e64 s[10:11], s17, v10
	v_mov_b32_e32 v11, s19
	s_and_saveexec_b64 s[24:25], s[10:11]
	s_cbranch_execz .LBB30_12
; %bb.11:                               ;   in Loop: Header=BB30_7 Depth=2
	v_mov_b32_e32 v11, v5
	v_lshl_add_u64 v[16:17], v[10:11], 2, v[6:7]
	global_load_dword v11, v[16:17], off
.LBB30_12:                              ;   in Loop: Header=BB30_7 Depth=2
	s_or_b64 exec, exec, s[24:25]
	s_waitcnt vmcnt(0)
	ds_write_b32 v12, v11
	s_and_b64 exec, exec, s[8:9]
	s_cbranch_execz .LBB30_14
; %bb.13:                               ;   in Loop: Header=BB30_7 Depth=2
	ds_read_b32 v11, v18
	s_waitcnt lgkmcnt(0)
	v_add_u32_e32 v11, v11, v15
	ds_write_b32 v18, v11
.LBB30_14:                              ;   in Loop: Header=BB30_7 Depth=2
	s_or_b64 exec, exec, s[22:23]
	s_mov_b64 s[22:23], 0
	v_mov_b32_e32 v11, 0
	s_waitcnt lgkmcnt(0)
	s_barrier
	s_branch .LBB30_16
.LBB30_15:                              ;   in Loop: Header=BB30_16 Depth=3
	s_or_b64 exec, exec, s[10:11]
	v_cmp_eq_u32_e64 s[10:11], s28, v11
	s_or_b64 s[22:23], s[10:11], s[22:23]
	s_waitcnt lgkmcnt(0)
	s_barrier
	s_andn2_b64 exec, exec, s[22:23]
	s_cbranch_execz .LBB30_20
.LBB30_16:                              ;   Parent Loop BB30_4 Depth=1
                                        ;     Parent Loop BB30_7 Depth=2
                                        ; =>    This Inner Loop Header: Depth=3
	v_add_u32_e32 v15, 1, v11
	s_and_saveexec_b64 s[10:11], s[6:7]
	s_xor_b64 s[10:11], exec, s[10:11]
; %bb.17:                               ;   in Loop: Header=BB30_16 Depth=3
	v_add_u32_e32 v11, 1, v11
                                        ; implicit-def: $vgpr15
; %bb.18:                               ;   in Loop: Header=BB30_16 Depth=3
	s_andn2_saveexec_b64 s[10:11], s[10:11]
	s_cbranch_execz .LBB30_15
; %bb.19:                               ;   in Loop: Header=BB30_16 Depth=3
	v_lshlrev_b32_e64 v16, v11, 1
	v_lshrrev_b32_e32 v17, v11, v1
	v_bfm_b32 v11, v11, 0
	v_lshl_or_b32 v16, v17, v15, v16
	v_and_b32_e32 v11, v11, v1
	v_lshlrev_b32_e32 v16, 2, v16
	v_lshlrev_b32_e32 v11, 2, v11
	v_add3_u32 v11, v18, v16, v11
	v_add_u32_e32 v16, v13, v16
	ds_read_b32 v17, v11
	ds_read_b32 v16, v16
	s_waitcnt lgkmcnt(0)
	v_add_u32_e32 v16, v16, v17
	ds_write_b32 v11, v16
	v_mov_b32_e32 v11, v15
	s_branch .LBB30_15
.LBB30_20:                              ;   in Loop: Header=BB30_7 Depth=2
	s_or_b64 exec, exec, s[22:23]
	s_and_saveexec_b64 s[22:23], vcc
	s_cbranch_execz .LBB30_6
; %bb.21:                               ;   in Loop: Header=BB30_7 Depth=2
	v_cmp_gt_u32_e64 s[10:11], s17, v4
	s_and_saveexec_b64 s[24:25], s[10:11]
	s_cbranch_execz .LBB30_23
; %bb.22:                               ;   in Loop: Header=BB30_7 Depth=2
	ds_read_b32 v11, v3
	v_lshl_add_u64 v[16:17], v[4:5], 2, v[8:9]
	s_waitcnt lgkmcnt(0)
	global_store_dword v[16:17], v11, off
.LBB30_23:                              ;   in Loop: Header=BB30_7 Depth=2
	s_or_b64 exec, exec, s[24:25]
	v_cmp_gt_u32_e64 s[10:11], s17, v10
	s_and_b64 exec, exec, s[10:11]
	s_cbranch_execz .LBB30_6
; %bb.24:                               ;   in Loop: Header=BB30_7 Depth=2
	ds_read_b32 v4, v12
	v_mov_b32_e32 v11, v5
	v_lshl_add_u64 v[10:11], v[10:11], 2, v[8:9]
	s_waitcnt lgkmcnt(0)
	global_store_dword v[10:11], v4, off
	s_branch .LBB30_6
.LBB30_25:
	s_mov_b64 s[4:5], 0
.LBB30_26:
	s_andn2_b64 vcc, exec, s[4:5]
	s_cbranch_vccnz .LBB30_53
; %bb.27:
	s_load_dword s3, s[0:1], 0x34
	s_add_u32 s4, s0, 40
	s_mov_b32 s21, 0
	s_addc_u32 s5, s1, 0
	v_mov_b64_e32 v[4:5], s[20:21]
	s_waitcnt lgkmcnt(0)
	s_lshr_b32 s0, s3, 16
	s_mul_hi_u32 s9, s0, s2
	s_mul_i32 s8, s0, s2
	v_cmp_ge_u64_e32 vcc, s[8:9], v[4:5]
	s_cbranch_vccnz .LBB30_53
; %bb.28:
	s_lshl_b32 s10, 1, s18
	s_load_dword s4, s[4:5], 0x0
	s_and_b32 s6, 0xffff, s0
	s_ashr_i32 s11, s10, 31
	s_cmp_lg_u32 s17, 0
	s_mov_b32 s22, s17
	v_and_b32_e32 v0, 0x3ff, v0
	s_cselect_b64 s[2:3], -1, 0
	s_lshl_b64 s[16:17], s[10:11], 1
	v_mov_b32_e32 v3, 0
	v_lshl_add_u32 v19, v0, 2, v18
	s_lshl_b32 s5, s16, 2
	v_cndmask_b32_e64 v4, 0, 1, s[2:3]
	s_mov_b32 s23, s21
	v_mov_b32_e32 v1, v3
	v_lshl_add_u32 v20, s10, 2, v19
	v_cmp_eq_u32_e64 s[0:1], 0, v0
	v_add3_u32 v21, v18, s5, -4
	s_waitcnt lgkmcnt(0)
	s_mul_i32 s33, s4, s6
	s_add_i32 s18, s18, 1
	v_cmp_ne_u32_e64 s[2:3], 1, v4
	v_mov_b64_e32 v[4:5], s[20:21]
	s_branch .LBB30_30
.LBB30_29:                              ;   in Loop: Header=BB30_30 Depth=1
	s_add_u32 s8, s8, s33
	s_addc_u32 s9, s9, 0
	v_cmp_ge_u64_e32 vcc, s[8:9], v[4:5]
	s_cbranch_vccnz .LBB30_53
.LBB30_30:                              ; =>This Loop Header: Depth=1
                                        ;     Child Loop BB30_33 Depth 2
                                        ;       Child Loop BB30_43 Depth 3
	s_and_b64 vcc, exec, s[2:3]
	s_cbranch_vccnz .LBB30_29
; %bb.31:                               ;   in Loop: Header=BB30_30 Depth=1
	v_lshl_add_u64 v[10:11], s[8:9], 0, v[2:3]
	v_mad_u64_u32 v[6:7], s[4:5], v10, s22, 0
	v_mov_b32_e32 v8, v7
	v_mad_u64_u32 v[8:9], s[4:5], v11, s22, v[8:9]
	v_mov_b32_e32 v7, v8
	v_lshlrev_b64 v[8:9], 2, v[6:7]
	v_lshl_add_u64 v[6:7], s[14:15], 0, v[8:9]
	v_lshl_add_u64 v[8:9], s[12:13], 0, v[8:9]
	v_cmp_gt_u64_e64 s[4:5], s[20:21], v[10:11]
	v_cmp_le_u64_e64 s[6:7], s[20:21], v[10:11]
	s_mov_b64 s[24:25], 0
	v_mov_b32_e32 v14, s19
	s_branch .LBB30_33
.LBB30_32:                              ;   in Loop: Header=BB30_33 Depth=2
	s_or_b64 exec, exec, s[26:27]
	ds_read_b32 v14, v21
	s_add_u32 s24, s24, s16
	s_addc_u32 s25, s25, s17
	v_mov_b64_e32 v[10:11], s[22:23]
	v_cmp_ge_u64_e32 vcc, s[24:25], v[10:11]
	s_waitcnt lgkmcnt(0)
	s_barrier
	s_cbranch_vccnz .LBB30_29
.LBB30_33:                              ;   Parent Loop BB30_30 Depth=1
                                        ; =>  This Loop Header: Depth=2
                                        ;       Child Loop BB30_43 Depth 3
	v_lshl_add_u64 v[12:13], s[24:25], 0, v[0:1]
	v_lshl_add_u64 v[10:11], v[12:13], 0, s[10:11]
	s_and_saveexec_b64 s[26:27], s[4:5]
	s_cbranch_execz .LBB30_40
; %bb.34:                               ;   in Loop: Header=BB30_33 Depth=2
	v_cmp_gt_u64_e32 vcc, s[22:23], v[12:13]
	v_mov_b32_e32 v15, s19
	s_and_saveexec_b64 s[28:29], vcc
	s_cbranch_execz .LBB30_36
; %bb.35:                               ;   in Loop: Header=BB30_33 Depth=2
	v_lshl_add_u64 v[16:17], v[12:13], 2, v[6:7]
	global_load_dword v15, v[16:17], off
.LBB30_36:                              ;   in Loop: Header=BB30_33 Depth=2
	s_or_b64 exec, exec, s[28:29]
	s_waitcnt vmcnt(0)
	ds_write_b32 v19, v15
	v_cmp_gt_u64_e32 vcc, s[22:23], v[10:11]
	v_mov_b32_e32 v15, s19
	s_and_saveexec_b64 s[28:29], vcc
	s_cbranch_execz .LBB30_38
; %bb.37:                               ;   in Loop: Header=BB30_33 Depth=2
	v_lshl_add_u64 v[16:17], v[10:11], 2, v[6:7]
	global_load_dword v15, v[16:17], off
.LBB30_38:                              ;   in Loop: Header=BB30_33 Depth=2
	s_or_b64 exec, exec, s[28:29]
	s_waitcnt vmcnt(0)
	ds_write_b32 v20, v15
	s_and_b64 exec, exec, s[0:1]
	s_cbranch_execz .LBB30_40
; %bb.39:                               ;   in Loop: Header=BB30_33 Depth=2
	ds_read_b32 v15, v18
	s_waitcnt lgkmcnt(0)
	v_add_u32_e32 v14, v15, v14
	ds_write_b32 v18, v14
.LBB30_40:                              ;   in Loop: Header=BB30_33 Depth=2
	s_or_b64 exec, exec, s[26:27]
	s_mov_b64 s[26:27], 0
	v_mov_b32_e32 v23, 0
	s_waitcnt lgkmcnt(0)
	s_barrier
	s_branch .LBB30_43
.LBB30_41:                              ;   in Loop: Header=BB30_43 Depth=3
	s_or_b64 exec, exec, s[30:31]
	v_lshrrev_b32_e32 v15, v23, v0
	v_lshl_or_b32 v14, v15, v22, v14
	v_lshl_add_u32 v14, v14, 2, v18
	v_lshl_add_u32 v15, v16, 2, v14
	v_add_u32_e32 v14, -4, v14
	ds_read_b32 v16, v15
	ds_read_b32 v14, v14
	s_waitcnt lgkmcnt(0)
	v_add_u32_e32 v14, v14, v16
	ds_write_b32 v15, v14
.LBB30_42:                              ;   in Loop: Header=BB30_43 Depth=3
	s_or_b64 exec, exec, s[28:29]
	v_cmp_eq_u32_e32 vcc, s18, v22
	s_or_b64 s[26:27], vcc, s[26:27]
	v_mov_b32_e32 v23, v22
	s_waitcnt lgkmcnt(0)
	s_barrier
	s_andn2_b64 exec, exec, s[26:27]
	s_cbranch_execz .LBB30_48
.LBB30_43:                              ;   Parent Loop BB30_30 Depth=1
                                        ;     Parent Loop BB30_33 Depth=2
                                        ; =>    This Inner Loop Header: Depth=3
	v_add_u32_e32 v22, 1, v23
	s_and_saveexec_b64 s[28:29], s[6:7]
	s_xor_b64 s[28:29], exec, s[28:29]
; %bb.44:                               ;   in Loop: Header=BB30_43 Depth=3
	v_add_u32_e32 v22, 1, v23
                                        ; implicit-def: $vgpr23
; %bb.45:                               ;   in Loop: Header=BB30_43 Depth=3
	s_andn2_saveexec_b64 s[28:29], s[28:29]
	s_cbranch_execz .LBB30_42
; %bb.46:                               ;   in Loop: Header=BB30_43 Depth=3
	v_lshlrev_b32_e64 v14, v23, 1
	v_ashrrev_i32_e32 v15, 31, v14
	v_cmp_ge_u64_e32 vcc, v[0:1], v[14:15]
	v_mov_b64_e32 v[16:17], v[0:1]
	s_and_saveexec_b64 s[30:31], vcc
	s_cbranch_execz .LBB30_41
; %bb.47:                               ;   in Loop: Header=BB30_43 Depth=3
	v_cvt_f32_u32_e32 v15, v14
	v_sub_u32_e32 v16, 0, v14
	v_rcp_iflag_f32_e32 v15, v15
	s_nop 0
	v_mul_f32_e32 v15, 0x4f7ffffe, v15
	v_cvt_u32_f32_e32 v15, v15
	v_mul_lo_u32 v16, v16, v15
	v_mul_hi_u32 v16, v15, v16
	v_add_u32_e32 v15, v15, v16
	v_mul_hi_u32 v15, v0, v15
	v_mul_lo_u32 v15, v15, v14
	v_sub_u32_e32 v15, v0, v15
	v_sub_u32_e32 v16, v15, v14
	v_cmp_ge_u32_e32 vcc, v15, v14
	s_nop 1
	v_cndmask_b32_e32 v15, v15, v16, vcc
	v_sub_u32_e32 v16, v15, v14
	v_cmp_ge_u32_e32 vcc, v15, v14
	s_nop 1
	v_cndmask_b32_e32 v16, v15, v16, vcc
	s_branch .LBB30_41
.LBB30_48:                              ;   in Loop: Header=BB30_33 Depth=2
	s_or_b64 exec, exec, s[26:27]
	s_and_saveexec_b64 s[26:27], s[4:5]
	s_cbranch_execz .LBB30_32
; %bb.49:                               ;   in Loop: Header=BB30_33 Depth=2
	v_cmp_gt_u64_e32 vcc, s[22:23], v[12:13]
	s_and_saveexec_b64 s[28:29], vcc
	s_cbranch_execz .LBB30_51
; %bb.50:                               ;   in Loop: Header=BB30_33 Depth=2
	ds_read_b32 v14, v19
	v_lshl_add_u64 v[12:13], v[12:13], 2, v[8:9]
	s_waitcnt lgkmcnt(0)
	global_store_dword v[12:13], v14, off
.LBB30_51:                              ;   in Loop: Header=BB30_33 Depth=2
	s_or_b64 exec, exec, s[28:29]
	v_cmp_gt_u64_e32 vcc, s[22:23], v[10:11]
	s_and_b64 exec, exec, vcc
	s_cbranch_execz .LBB30_32
; %bb.52:                               ;   in Loop: Header=BB30_33 Depth=2
	ds_read_b32 v12, v20
	v_lshl_add_u64 v[10:11], v[10:11], 2, v[8:9]
	s_waitcnt lgkmcnt(0)
	global_store_dword v[10:11], v12, off
	s_branch .LBB30_32
.LBB30_53:
	s_endpgm
	.section	.rodata,"a",@progbits
	.p2align	6, 0x0
	.amdhsa_kernel _ZN2at6native32tensor_kernel_scan_innermost_dimIiSt4plusIiEEEvPT_PKS4_jjjS4_T0_
		.amdhsa_group_segment_fixed_size 0
		.amdhsa_private_segment_fixed_size 0
		.amdhsa_kernarg_size 296
		.amdhsa_user_sgpr_count 2
		.amdhsa_user_sgpr_dispatch_ptr 0
		.amdhsa_user_sgpr_queue_ptr 0
		.amdhsa_user_sgpr_kernarg_segment_ptr 1
		.amdhsa_user_sgpr_dispatch_id 0
		.amdhsa_user_sgpr_kernarg_preload_length 0
		.amdhsa_user_sgpr_kernarg_preload_offset 0
		.amdhsa_user_sgpr_private_segment_size 0
		.amdhsa_uses_dynamic_stack 0
		.amdhsa_enable_private_segment 0
		.amdhsa_system_sgpr_workgroup_id_x 1
		.amdhsa_system_sgpr_workgroup_id_y 0
		.amdhsa_system_sgpr_workgroup_id_z 0
		.amdhsa_system_sgpr_workgroup_info 0
		.amdhsa_system_vgpr_workitem_id 1
		.amdhsa_next_free_vgpr 24
		.amdhsa_next_free_sgpr 34
		.amdhsa_accum_offset 24
		.amdhsa_reserve_vcc 1
		.amdhsa_float_round_mode_32 0
		.amdhsa_float_round_mode_16_64 0
		.amdhsa_float_denorm_mode_32 3
		.amdhsa_float_denorm_mode_16_64 3
		.amdhsa_dx10_clamp 1
		.amdhsa_ieee_mode 1
		.amdhsa_fp16_overflow 0
		.amdhsa_tg_split 0
		.amdhsa_exception_fp_ieee_invalid_op 0
		.amdhsa_exception_fp_denorm_src 0
		.amdhsa_exception_fp_ieee_div_zero 0
		.amdhsa_exception_fp_ieee_overflow 0
		.amdhsa_exception_fp_ieee_underflow 0
		.amdhsa_exception_fp_ieee_inexact 0
		.amdhsa_exception_int_div_zero 0
	.end_amdhsa_kernel
	.section	.text._ZN2at6native32tensor_kernel_scan_innermost_dimIiSt4plusIiEEEvPT_PKS4_jjjS4_T0_,"axG",@progbits,_ZN2at6native32tensor_kernel_scan_innermost_dimIiSt4plusIiEEEvPT_PKS4_jjjS4_T0_,comdat
.Lfunc_end30:
	.size	_ZN2at6native32tensor_kernel_scan_innermost_dimIiSt4plusIiEEEvPT_PKS4_jjjS4_T0_, .Lfunc_end30-_ZN2at6native32tensor_kernel_scan_innermost_dimIiSt4plusIiEEEvPT_PKS4_jjjS4_T0_
                                        ; -- End function
	.section	.AMDGPU.csdata,"",@progbits
; Kernel info:
; codeLenInByte = 1624
; NumSgprs: 40
; NumVgprs: 24
; NumAgprs: 0
; TotalNumVgprs: 24
; ScratchSize: 0
; MemoryBound: 0
; FloatMode: 240
; IeeeMode: 1
; LDSByteSize: 0 bytes/workgroup (compile time only)
; SGPRBlocks: 4
; VGPRBlocks: 2
; NumSGPRsForWavesPerEU: 40
; NumVGPRsForWavesPerEU: 24
; AccumOffset: 24
; Occupancy: 8
; WaveLimiterHint : 0
; COMPUTE_PGM_RSRC2:SCRATCH_EN: 0
; COMPUTE_PGM_RSRC2:USER_SGPR: 2
; COMPUTE_PGM_RSRC2:TRAP_HANDLER: 0
; COMPUTE_PGM_RSRC2:TGID_X_EN: 1
; COMPUTE_PGM_RSRC2:TGID_Y_EN: 0
; COMPUTE_PGM_RSRC2:TGID_Z_EN: 0
; COMPUTE_PGM_RSRC2:TIDIG_COMP_CNT: 1
; COMPUTE_PGM_RSRC3_GFX90A:ACCUM_OFFSET: 5
; COMPUTE_PGM_RSRC3_GFX90A:TG_SPLIT: 0
	.section	.text._ZN2at6native28tensor_kernel_scan_outer_dimIijSt4plusIiEEEvPT_PKS4_jjjS4_T1_,"axG",@progbits,_ZN2at6native28tensor_kernel_scan_outer_dimIijSt4plusIiEEEvPT_PKS4_jjjS4_T1_,comdat
	.protected	_ZN2at6native28tensor_kernel_scan_outer_dimIijSt4plusIiEEEvPT_PKS4_jjjS4_T1_ ; -- Begin function _ZN2at6native28tensor_kernel_scan_outer_dimIijSt4plusIiEEEvPT_PKS4_jjjS4_T1_
	.globl	_ZN2at6native28tensor_kernel_scan_outer_dimIijSt4plusIiEEEvPT_PKS4_jjjS4_T1_
	.p2align	8
	.type	_ZN2at6native28tensor_kernel_scan_outer_dimIijSt4plusIiEEEvPT_PKS4_jjjS4_T1_,@function
_ZN2at6native28tensor_kernel_scan_outer_dimIijSt4plusIiEEEvPT_PKS4_jjjS4_T1_: ; @_ZN2at6native28tensor_kernel_scan_outer_dimIijSt4plusIiEEEvPT_PKS4_jjjS4_T1_
; %bb.0:
	s_load_dwordx4 s[8:11], s[0:1], 0x10
	s_waitcnt lgkmcnt(0)
	s_cmp_ge_u32 s2, s8
	s_cbranch_scc1 .LBB31_9
; %bb.1:
	s_load_dword s4, s[0:1], 0x34
	s_load_dwordx4 s[12:15], s[0:1], 0x0
	s_load_dword s26, s[0:1], 0x28
	s_add_u32 s6, s0, 40
	s_addc_u32 s7, s1, 0
	s_waitcnt lgkmcnt(0)
	s_and_b32 s27, s4, 0xffff
	s_mul_i32 s3, s3, s27
	s_cmp_lg_u32 s10, 0
	v_add_u32_e32 v4, s3, v0
	s_mul_i32 s3, s2, s10
	s_cselect_b64 s[4:5], -1, 0
	s_mov_b32 s17, 0
	s_mov_b32 s16, s9
	s_mul_i32 s20, s3, s9
	s_mul_i32 s3, s26, s10
	v_cndmask_b32_e64 v0, 0, 1, s[4:5]
	v_cmp_gt_u32_e64 s[0:1], s9, v4
	s_mul_i32 s3, s3, s9
	s_lshl_b64 s[18:19], s[16:17], 2
	v_cmp_ne_u32_e64 s[4:5], 1, v0
	v_mov_b32_e32 v1, 0
	s_mov_b32 s16, s20
	s_branch .LBB31_3
.LBB31_2:                               ;   in Loop: Header=BB31_3 Depth=1
	s_or_b64 exec, exec, s[20:21]
	s_add_i32 s2, s26, s2
	s_add_i32 s16, s16, s3
	s_cmp_ge_u32 s2, s8
	s_cbranch_scc1 .LBB31_9
.LBB31_3:                               ; =>This Loop Header: Depth=1
                                        ;     Child Loop BB31_6 Depth 2
                                        ;       Child Loop BB31_8 Depth 3
	s_and_saveexec_b64 s[20:21], s[0:1]
	s_cbranch_execz .LBB31_2
; %bb.4:                                ;   in Loop: Header=BB31_3 Depth=1
	s_load_dword s28, s[6:7], 0x4
	s_lshl_b64 s[22:23], s[16:17], 2
	s_mov_b64 s[24:25], 0
	v_mov_b32_e32 v0, v4
	s_waitcnt lgkmcnt(0)
	s_mul_i32 s28, s28, s27
	s_branch .LBB31_6
.LBB31_5:                               ;   in Loop: Header=BB31_6 Depth=2
	v_add_u32_e32 v0, s28, v0
	v_cmp_le_u32_e32 vcc, s9, v0
	s_or_b64 s[24:25], vcc, s[24:25]
	s_andn2_b64 exec, exec, s[24:25]
	s_cbranch_execz .LBB31_2
.LBB31_6:                               ;   Parent Loop BB31_3 Depth=1
                                        ; =>  This Loop Header: Depth=2
                                        ;       Child Loop BB31_8 Depth 3
	s_and_b64 vcc, exec, s[4:5]
	s_cbranch_vccnz .LBB31_5
; %bb.7:                                ;   in Loop: Header=BB31_6 Depth=2
	v_lshl_add_u64 v[2:3], v[0:1], 2, s[22:23]
	v_mov_b32_e32 v5, s11
	s_mov_b32 s29, s10
.LBB31_8:                               ;   Parent Loop BB31_3 Depth=1
                                        ;     Parent Loop BB31_6 Depth=2
                                        ; =>    This Inner Loop Header: Depth=3
	v_lshl_add_u64 v[6:7], s[14:15], 0, v[2:3]
	global_load_dword v8, v[6:7], off
	s_add_i32 s29, s29, -1
	v_lshl_add_u64 v[6:7], s[12:13], 0, v[2:3]
	v_lshl_add_u64 v[2:3], v[2:3], 0, s[18:19]
	s_cmp_eq_u32 s29, 0
	s_waitcnt vmcnt(0)
	v_add_u32_e32 v5, v8, v5
	global_store_dword v[6:7], v5, off
	s_cbranch_scc0 .LBB31_8
	s_branch .LBB31_5
.LBB31_9:
	s_endpgm
	.section	.rodata,"a",@progbits
	.p2align	6, 0x0
	.amdhsa_kernel _ZN2at6native28tensor_kernel_scan_outer_dimIijSt4plusIiEEEvPT_PKS4_jjjS4_T1_
		.amdhsa_group_segment_fixed_size 0
		.amdhsa_private_segment_fixed_size 0
		.amdhsa_kernarg_size 296
		.amdhsa_user_sgpr_count 2
		.amdhsa_user_sgpr_dispatch_ptr 0
		.amdhsa_user_sgpr_queue_ptr 0
		.amdhsa_user_sgpr_kernarg_segment_ptr 1
		.amdhsa_user_sgpr_dispatch_id 0
		.amdhsa_user_sgpr_kernarg_preload_length 0
		.amdhsa_user_sgpr_kernarg_preload_offset 0
		.amdhsa_user_sgpr_private_segment_size 0
		.amdhsa_uses_dynamic_stack 0
		.amdhsa_enable_private_segment 0
		.amdhsa_system_sgpr_workgroup_id_x 1
		.amdhsa_system_sgpr_workgroup_id_y 1
		.amdhsa_system_sgpr_workgroup_id_z 0
		.amdhsa_system_sgpr_workgroup_info 0
		.amdhsa_system_vgpr_workitem_id 0
		.amdhsa_next_free_vgpr 9
		.amdhsa_next_free_sgpr 30
		.amdhsa_accum_offset 12
		.amdhsa_reserve_vcc 1
		.amdhsa_float_round_mode_32 0
		.amdhsa_float_round_mode_16_64 0
		.amdhsa_float_denorm_mode_32 3
		.amdhsa_float_denorm_mode_16_64 3
		.amdhsa_dx10_clamp 1
		.amdhsa_ieee_mode 1
		.amdhsa_fp16_overflow 0
		.amdhsa_tg_split 0
		.amdhsa_exception_fp_ieee_invalid_op 0
		.amdhsa_exception_fp_denorm_src 0
		.amdhsa_exception_fp_ieee_div_zero 0
		.amdhsa_exception_fp_ieee_overflow 0
		.amdhsa_exception_fp_ieee_underflow 0
		.amdhsa_exception_fp_ieee_inexact 0
		.amdhsa_exception_int_div_zero 0
	.end_amdhsa_kernel
	.section	.text._ZN2at6native28tensor_kernel_scan_outer_dimIijSt4plusIiEEEvPT_PKS4_jjjS4_T1_,"axG",@progbits,_ZN2at6native28tensor_kernel_scan_outer_dimIijSt4plusIiEEEvPT_PKS4_jjjS4_T1_,comdat
.Lfunc_end31:
	.size	_ZN2at6native28tensor_kernel_scan_outer_dimIijSt4plusIiEEEvPT_PKS4_jjjS4_T1_, .Lfunc_end31-_ZN2at6native28tensor_kernel_scan_outer_dimIijSt4plusIiEEEvPT_PKS4_jjjS4_T1_
                                        ; -- End function
	.section	.AMDGPU.csdata,"",@progbits
; Kernel info:
; codeLenInByte = 316
; NumSgprs: 36
; NumVgprs: 9
; NumAgprs: 0
; TotalNumVgprs: 9
; ScratchSize: 0
; MemoryBound: 0
; FloatMode: 240
; IeeeMode: 1
; LDSByteSize: 0 bytes/workgroup (compile time only)
; SGPRBlocks: 4
; VGPRBlocks: 1
; NumSGPRsForWavesPerEU: 36
; NumVGPRsForWavesPerEU: 9
; AccumOffset: 12
; Occupancy: 8
; WaveLimiterHint : 0
; COMPUTE_PGM_RSRC2:SCRATCH_EN: 0
; COMPUTE_PGM_RSRC2:USER_SGPR: 2
; COMPUTE_PGM_RSRC2:TRAP_HANDLER: 0
; COMPUTE_PGM_RSRC2:TGID_X_EN: 1
; COMPUTE_PGM_RSRC2:TGID_Y_EN: 1
; COMPUTE_PGM_RSRC2:TGID_Z_EN: 0
; COMPUTE_PGM_RSRC2:TIDIG_COMP_CNT: 0
; COMPUTE_PGM_RSRC3_GFX90A:ACCUM_OFFSET: 2
; COMPUTE_PGM_RSRC3_GFX90A:TG_SPLIT: 0
	.section	.text._ZN2at6native28tensor_kernel_scan_outer_dimIimSt4plusIiEEEvPT_PKS4_jjjS4_T1_,"axG",@progbits,_ZN2at6native28tensor_kernel_scan_outer_dimIimSt4plusIiEEEvPT_PKS4_jjjS4_T1_,comdat
	.protected	_ZN2at6native28tensor_kernel_scan_outer_dimIimSt4plusIiEEEvPT_PKS4_jjjS4_T1_ ; -- Begin function _ZN2at6native28tensor_kernel_scan_outer_dimIimSt4plusIiEEEvPT_PKS4_jjjS4_T1_
	.globl	_ZN2at6native28tensor_kernel_scan_outer_dimIimSt4plusIiEEEvPT_PKS4_jjjS4_T1_
	.p2align	8
	.type	_ZN2at6native28tensor_kernel_scan_outer_dimIimSt4plusIiEEEvPT_PKS4_jjjS4_T1_,@function
_ZN2at6native28tensor_kernel_scan_outer_dimIimSt4plusIiEEEvPT_PKS4_jjjS4_T1_: ; @_ZN2at6native28tensor_kernel_scan_outer_dimIimSt4plusIiEEEvPT_PKS4_jjjS4_T1_
; %bb.0:
	s_load_dwordx4 s[8:11], s[0:1], 0x10
	s_waitcnt lgkmcnt(0)
	s_cmp_ge_u32 s2, s8
	s_cbranch_scc1 .LBB32_9
; %bb.1:
	s_load_dword s4, s[0:1], 0x34
	s_load_dwordx4 s[12:15], s[0:1], 0x0
	s_load_dword s26, s[0:1], 0x28
	s_add_u32 s6, s0, 40
	s_addc_u32 s7, s1, 0
	s_waitcnt lgkmcnt(0)
	s_and_b32 s27, s4, 0xffff
	s_cmp_lg_u32 s10, 0
	s_mul_i32 s3, s3, s27
	s_cselect_b64 s[20:21], -1, 0
	v_add_u32_e32 v4, s3, v0
	s_mov_b32 s5, 0
	s_mov_b32 s4, s9
	s_mul_hi_u32 s17, s10, s9
	s_mul_i32 s16, s10, s9
	v_cndmask_b32_e64 v0, 0, 1, s[20:21]
	v_cmp_gt_u32_e64 s[0:1], s9, v4
	s_lshl_b64 s[16:17], s[16:17], 2
	s_lshl_b64 s[18:19], s[4:5], 2
	v_cmp_ne_u32_e64 s[4:5], 1, v0
	v_mov_b32_e32 v1, 0
	s_branch .LBB32_3
.LBB32_2:                               ;   in Loop: Header=BB32_3 Depth=1
	s_or_b64 exec, exec, s[20:21]
	s_add_i32 s2, s2, s26
	s_cmp_ge_u32 s2, s8
	s_cbranch_scc1 .LBB32_9
.LBB32_3:                               ; =>This Loop Header: Depth=1
                                        ;     Child Loop BB32_6 Depth 2
                                        ;       Child Loop BB32_8 Depth 3
	s_and_saveexec_b64 s[20:21], s[0:1]
	s_cbranch_execz .LBB32_2
; %bb.4:                                ;   in Loop: Header=BB32_3 Depth=1
	s_load_dword s3, s[6:7], 0x4
	s_mul_i32 s23, s17, s2
	s_mul_hi_u32 s24, s16, s2
	s_mul_i32 s22, s16, s2
	s_add_i32 s23, s24, s23
	s_waitcnt lgkmcnt(0)
	s_mul_i32 s3, s3, s27
	s_mov_b64 s[24:25], 0
	v_mov_b32_e32 v0, v4
	s_branch .LBB32_6
.LBB32_5:                               ;   in Loop: Header=BB32_6 Depth=2
	v_add_u32_e32 v0, s3, v0
	v_cmp_le_u32_e32 vcc, s9, v0
	s_or_b64 s[24:25], vcc, s[24:25]
	s_andn2_b64 exec, exec, s[24:25]
	s_cbranch_execz .LBB32_2
.LBB32_6:                               ;   Parent Loop BB32_3 Depth=1
                                        ; =>  This Loop Header: Depth=2
                                        ;       Child Loop BB32_8 Depth 3
	s_and_b64 vcc, exec, s[4:5]
	s_cbranch_vccnz .LBB32_5
; %bb.7:                                ;   in Loop: Header=BB32_6 Depth=2
	v_lshl_add_u64 v[2:3], v[0:1], 2, s[22:23]
	v_mov_b32_e32 v5, s11
	s_mov_b32 s28, s10
.LBB32_8:                               ;   Parent Loop BB32_3 Depth=1
                                        ;     Parent Loop BB32_6 Depth=2
                                        ; =>    This Inner Loop Header: Depth=3
	v_lshl_add_u64 v[6:7], s[14:15], 0, v[2:3]
	global_load_dword v8, v[6:7], off
	s_add_i32 s28, s28, -1
	v_lshl_add_u64 v[6:7], s[12:13], 0, v[2:3]
	v_lshl_add_u64 v[2:3], v[2:3], 0, s[18:19]
	s_cmp_eq_u32 s28, 0
	s_waitcnt vmcnt(0)
	v_add_u32_e32 v5, v8, v5
	global_store_dword v[6:7], v5, off
	s_cbranch_scc0 .LBB32_8
	s_branch .LBB32_5
.LBB32_9:
	s_endpgm
	.section	.rodata,"a",@progbits
	.p2align	6, 0x0
	.amdhsa_kernel _ZN2at6native28tensor_kernel_scan_outer_dimIimSt4plusIiEEEvPT_PKS4_jjjS4_T1_
		.amdhsa_group_segment_fixed_size 0
		.amdhsa_private_segment_fixed_size 0
		.amdhsa_kernarg_size 296
		.amdhsa_user_sgpr_count 2
		.amdhsa_user_sgpr_dispatch_ptr 0
		.amdhsa_user_sgpr_queue_ptr 0
		.amdhsa_user_sgpr_kernarg_segment_ptr 1
		.amdhsa_user_sgpr_dispatch_id 0
		.amdhsa_user_sgpr_kernarg_preload_length 0
		.amdhsa_user_sgpr_kernarg_preload_offset 0
		.amdhsa_user_sgpr_private_segment_size 0
		.amdhsa_uses_dynamic_stack 0
		.amdhsa_enable_private_segment 0
		.amdhsa_system_sgpr_workgroup_id_x 1
		.amdhsa_system_sgpr_workgroup_id_y 1
		.amdhsa_system_sgpr_workgroup_id_z 0
		.amdhsa_system_sgpr_workgroup_info 0
		.amdhsa_system_vgpr_workitem_id 0
		.amdhsa_next_free_vgpr 9
		.amdhsa_next_free_sgpr 29
		.amdhsa_accum_offset 12
		.amdhsa_reserve_vcc 1
		.amdhsa_float_round_mode_32 0
		.amdhsa_float_round_mode_16_64 0
		.amdhsa_float_denorm_mode_32 3
		.amdhsa_float_denorm_mode_16_64 3
		.amdhsa_dx10_clamp 1
		.amdhsa_ieee_mode 1
		.amdhsa_fp16_overflow 0
		.amdhsa_tg_split 0
		.amdhsa_exception_fp_ieee_invalid_op 0
		.amdhsa_exception_fp_denorm_src 0
		.amdhsa_exception_fp_ieee_div_zero 0
		.amdhsa_exception_fp_ieee_overflow 0
		.amdhsa_exception_fp_ieee_underflow 0
		.amdhsa_exception_fp_ieee_inexact 0
		.amdhsa_exception_int_div_zero 0
	.end_amdhsa_kernel
	.section	.text._ZN2at6native28tensor_kernel_scan_outer_dimIimSt4plusIiEEEvPT_PKS4_jjjS4_T1_,"axG",@progbits,_ZN2at6native28tensor_kernel_scan_outer_dimIimSt4plusIiEEEvPT_PKS4_jjjS4_T1_,comdat
.Lfunc_end32:
	.size	_ZN2at6native28tensor_kernel_scan_outer_dimIimSt4plusIiEEEvPT_PKS4_jjjS4_T1_, .Lfunc_end32-_ZN2at6native28tensor_kernel_scan_outer_dimIimSt4plusIiEEEvPT_PKS4_jjjS4_T1_
                                        ; -- End function
	.section	.AMDGPU.csdata,"",@progbits
; Kernel info:
; codeLenInByte = 316
; NumSgprs: 35
; NumVgprs: 9
; NumAgprs: 0
; TotalNumVgprs: 9
; ScratchSize: 0
; MemoryBound: 0
; FloatMode: 240
; IeeeMode: 1
; LDSByteSize: 0 bytes/workgroup (compile time only)
; SGPRBlocks: 4
; VGPRBlocks: 1
; NumSGPRsForWavesPerEU: 35
; NumVGPRsForWavesPerEU: 9
; AccumOffset: 12
; Occupancy: 8
; WaveLimiterHint : 0
; COMPUTE_PGM_RSRC2:SCRATCH_EN: 0
; COMPUTE_PGM_RSRC2:USER_SGPR: 2
; COMPUTE_PGM_RSRC2:TRAP_HANDLER: 0
; COMPUTE_PGM_RSRC2:TGID_X_EN: 1
; COMPUTE_PGM_RSRC2:TGID_Y_EN: 1
; COMPUTE_PGM_RSRC2:TGID_Z_EN: 0
; COMPUTE_PGM_RSRC2:TIDIG_COMP_CNT: 0
; COMPUTE_PGM_RSRC3_GFX90A:ACCUM_OFFSET: 2
; COMPUTE_PGM_RSRC3_GFX90A:TG_SPLIT: 0
	.section	.text._ZN2at4cuda3cub15calc_block_sumsILi256ELi16ELb0EllEEvPKT2_PT3_li,"axG",@progbits,_ZN2at4cuda3cub15calc_block_sumsILi256ELi16ELb0EllEEvPKT2_PT3_li,comdat
	.protected	_ZN2at4cuda3cub15calc_block_sumsILi256ELi16ELb0EllEEvPKT2_PT3_li ; -- Begin function _ZN2at4cuda3cub15calc_block_sumsILi256ELi16ELb0EllEEvPKT2_PT3_li
	.globl	_ZN2at4cuda3cub15calc_block_sumsILi256ELi16ELb0EllEEvPKT2_PT3_li
	.p2align	8
	.type	_ZN2at4cuda3cub15calc_block_sumsILi256ELi16ELb0EllEEvPKT2_PT3_li,@function
_ZN2at4cuda3cub15calc_block_sumsILi256ELi16ELb0EllEEvPKT2_PT3_li: ; @_ZN2at4cuda3cub15calc_block_sumsILi256ELi16ELb0EllEEvPKT2_PT3_li
; %bb.0:
	s_load_dword s16, s[0:1], 0x18
	s_load_dwordx2 s[4:5], s[0:1], 0x10
	s_waitcnt lgkmcnt(0)
	s_lshl_b32 s3, s16, 12
	s_ashr_i32 s6, s3, 31
	s_mul_hi_u32 s7, s3, s2
	s_mul_i32 s6, s6, s2
	s_add_i32 s7, s7, s6
	s_mul_i32 s6, s3, s2
	s_sub_u32 s12, s4, s6
	s_subb_u32 s13, s5, s7
	v_cmp_lt_i64_e64 s[8:9], s[12:13], 1
	s_and_b64 vcc, exec, s[8:9]
	s_cbranch_vccnz .LBB33_54
; %bb.1:
	s_load_dwordx4 s[8:11], s[0:1], 0x0
	s_cmp_gt_i32 s16, 0
	s_mov_b32 s3, 0
	s_cbranch_scc1 .LBB33_3
; %bb.2:
	s_mov_b64 s[14:15], 0
	s_mov_b64 s[0:1], 0
	v_mov_b64_e32 v[38:39], s[0:1]
	s_cbranch_execz .LBB33_4
	s_branch .LBB33_52
.LBB33_3:
	s_mov_b64 s[14:15], -1
                                        ; implicit-def: $sgpr0_sgpr1
	v_mov_b64_e32 v[38:39], s[0:1]
.LBB33_4:
	s_mul_i32 s5, s2, s16
	s_lshl_b32 s5, s5, 12
	s_sub_i32 s17, s4, s5
	s_lshl_b64 s[4:5], s[6:7], 3
	v_lshrrev_b32_e32 v2, 3, v0
	v_mov_b32_e32 v4, 0
	s_waitcnt lgkmcnt(0)
	s_add_u32 s4, s8, s4
	v_and_b32_e32 v58, 0x78, v2
	v_lshlrev_b32_e32 v2, 3, v0
	v_mov_b32_e32 v3, v4
	s_addc_u32 s5, s9, s5
	v_lshl_add_u64 v[42:43], s[4:5], 0, v[2:3]
	v_mbcnt_lo_u32_b32 v2, -1, 0
	v_mbcnt_hi_u32_b32 v59, -1, v2
	v_bfrev_b32_e32 v2, 0.5
	v_add_u32_e32 v1, 0x100, v0
	v_add_u32_e32 v44, 0x200, v0
	v_add_u32_e32 v45, 0x300, v0
	v_or_b32_e32 v46, 0x400, v0
	v_add_u32_e32 v47, 0x500, v0
	v_add_u32_e32 v48, 0x600, v0
	v_add_u32_e32 v49, 0x700, v0
	v_or_b32_e32 v50, 0x800, v0
	;; [unrolled: 4-line block ×3, first 2 shown]
	v_add_u32_e32 v55, 0xd00, v0
	v_add_u32_e32 v56, 0xe00, v0
	;; [unrolled: 1-line block ×3, first 2 shown]
	v_cmp_gt_u32_e64 s[0:1], 64, v0
	s_mov_b32 s36, 0
	s_mov_b64 s[14:15], -1
	v_mov_b64_e32 v[38:39], 0
	v_mov_b64_e32 v[40:41], 0x1000
	s_mov_b64 s[8:9], 0x8000
	v_lshl_or_b32 v60, v59, 2, v2
	s_mov_b32 s18, 0
	s_branch .LBB33_6
.LBB33_5:                               ;   in Loop: Header=BB33_6 Depth=1
	s_add_u32 s12, s12, 0xfffff000
	s_addc_u32 s13, s13, -1
	s_add_i32 s18, s18, 1
	s_cmp_lt_i32 s18, s16
	s_cselect_b64 s[14:15], -1, 0
	s_addk_i32 s17, 0xf000
	s_cmp_eq_u32 s16, s18
	v_lshl_add_u64 v[42:43], v[42:43], 0, s[8:9]
	s_cselect_b64 s[4:5], -1, 0
	s_barrier
	s_andn2_b64 vcc, exec, s[4:5]
	s_cbranch_vccz .LBB33_52
.LBB33_6:                               ; =>This Inner Loop Header: Depth=1
	v_cmp_lt_i64_e32 vcc, s[12:13], v[40:41]
	s_mov_b64 s[4:5], -1
                                        ; implicit-def: $vgpr2_vgpr3
	s_cbranch_vccz .LBB33_29
; %bb.7:                                ;   in Loop: Header=BB33_6 Depth=1
	s_mov_b32 s37, s36
	s_mov_b32 s38, s36
	s_mov_b32 s39, s36
	s_mov_b32 s40, s36
	s_mov_b32 s41, s36
	s_mov_b32 s42, s36
	s_mov_b32 s43, s36
	s_mov_b32 s44, s36
	s_mov_b32 s45, s36
	s_mov_b32 s46, s36
	s_mov_b32 s47, s36
	s_mov_b32 s48, s36
	s_mov_b32 s49, s36
	s_mov_b32 s50, s36
	s_mov_b32 s51, s36
	s_mov_b32 s52, s36
	s_mov_b32 s53, s36
	s_mov_b32 s54, s36
	s_mov_b32 s55, s36
	s_mov_b32 s56, s36
	s_mov_b32 s57, s36
	s_mov_b32 s58, s36
	s_mov_b32 s59, s36
	s_mov_b32 s60, s36
	s_mov_b32 s61, s36
	s_mov_b32 s62, s36
	s_mov_b32 s63, s36
	s_mov_b32 s64, s36
	s_mov_b32 s65, s36
	s_mov_b32 s66, s36
	s_mov_b32 s67, s36
	v_mov_b64_e32 v[6:7], s[36:37]
	v_cmp_gt_u32_e32 vcc, s17, v0
	v_mov_b64_e32 v[8:9], s[38:39]
	v_mov_b64_e32 v[10:11], s[40:41]
	;; [unrolled: 1-line block ×15, first 2 shown]
	s_and_saveexec_b64 s[4:5], vcc
	s_cbranch_execnz .LBB33_37
; %bb.8:                                ;   in Loop: Header=BB33_6 Depth=1
	s_or_b64 exec, exec, s[4:5]
	v_cmp_gt_u32_e32 vcc, s17, v1
	s_and_saveexec_b64 s[4:5], vcc
	s_cbranch_execnz .LBB33_38
.LBB33_9:                               ;   in Loop: Header=BB33_6 Depth=1
	s_or_b64 exec, exec, s[4:5]
	v_cmp_gt_u32_e32 vcc, s17, v44
	s_and_saveexec_b64 s[4:5], vcc
	s_cbranch_execnz .LBB33_39
.LBB33_10:                              ;   in Loop: Header=BB33_6 Depth=1
	s_or_b64 exec, exec, s[4:5]
	v_cmp_gt_u32_e32 vcc, s17, v45
	s_and_saveexec_b64 s[4:5], vcc
	s_cbranch_execnz .LBB33_40
.LBB33_11:                              ;   in Loop: Header=BB33_6 Depth=1
	s_or_b64 exec, exec, s[4:5]
	v_cmp_gt_u32_e32 vcc, s17, v46
	s_and_saveexec_b64 s[4:5], vcc
	s_cbranch_execnz .LBB33_41
.LBB33_12:                              ;   in Loop: Header=BB33_6 Depth=1
	s_or_b64 exec, exec, s[4:5]
	v_cmp_gt_u32_e32 vcc, s17, v47
	s_and_saveexec_b64 s[4:5], vcc
	s_cbranch_execnz .LBB33_42
.LBB33_13:                              ;   in Loop: Header=BB33_6 Depth=1
	s_or_b64 exec, exec, s[4:5]
	v_cmp_gt_u32_e32 vcc, s17, v48
	s_and_saveexec_b64 s[4:5], vcc
	s_cbranch_execnz .LBB33_43
.LBB33_14:                              ;   in Loop: Header=BB33_6 Depth=1
	s_or_b64 exec, exec, s[4:5]
	v_cmp_gt_u32_e32 vcc, s17, v49
	s_and_saveexec_b64 s[4:5], vcc
	s_cbranch_execnz .LBB33_44
.LBB33_15:                              ;   in Loop: Header=BB33_6 Depth=1
	s_or_b64 exec, exec, s[4:5]
	v_cmp_gt_u32_e32 vcc, s17, v50
	s_and_saveexec_b64 s[4:5], vcc
	s_cbranch_execnz .LBB33_45
.LBB33_16:                              ;   in Loop: Header=BB33_6 Depth=1
	s_or_b64 exec, exec, s[4:5]
	v_cmp_gt_u32_e32 vcc, s17, v51
	s_and_saveexec_b64 s[4:5], vcc
	s_cbranch_execnz .LBB33_46
.LBB33_17:                              ;   in Loop: Header=BB33_6 Depth=1
	s_or_b64 exec, exec, s[4:5]
	v_cmp_gt_u32_e32 vcc, s17, v52
	s_and_saveexec_b64 s[4:5], vcc
	s_cbranch_execnz .LBB33_47
.LBB33_18:                              ;   in Loop: Header=BB33_6 Depth=1
	s_or_b64 exec, exec, s[4:5]
	v_cmp_gt_u32_e32 vcc, s17, v53
	s_and_saveexec_b64 s[4:5], vcc
	s_cbranch_execnz .LBB33_48
.LBB33_19:                              ;   in Loop: Header=BB33_6 Depth=1
	s_or_b64 exec, exec, s[4:5]
	v_cmp_gt_u32_e32 vcc, s17, v54
	s_and_saveexec_b64 s[4:5], vcc
	s_cbranch_execnz .LBB33_49
.LBB33_20:                              ;   in Loop: Header=BB33_6 Depth=1
	s_or_b64 exec, exec, s[4:5]
	v_cmp_gt_u32_e32 vcc, s17, v55
	s_and_saveexec_b64 s[4:5], vcc
	s_cbranch_execnz .LBB33_50
.LBB33_21:                              ;   in Loop: Header=BB33_6 Depth=1
	s_or_b64 exec, exec, s[4:5]
	v_cmp_gt_u32_e32 vcc, s17, v56
	s_and_saveexec_b64 s[4:5], vcc
	s_cbranch_execnz .LBB33_51
.LBB33_22:                              ;   in Loop: Header=BB33_6 Depth=1
	s_or_b64 exec, exec, s[4:5]
	v_cmp_gt_u32_e32 vcc, s17, v57
	s_and_saveexec_b64 s[4:5], vcc
	s_cbranch_execz .LBB33_24
.LBB33_23:                              ;   in Loop: Header=BB33_6 Depth=1
	v_add_co_u32_e32 v2, vcc, 0x7000, v42
	s_nop 1
	v_addc_co_u32_e32 v3, vcc, 0, v43, vcc
	global_load_dwordx2 v[36:37], v[2:3], off offset:2048
.LBB33_24:                              ;   in Loop: Header=BB33_6 Depth=1
	s_or_b64 exec, exec, s[4:5]
	s_waitcnt vmcnt(0)
	v_lshl_add_u64 v[2:3], v[8:9], 0, v[6:7]
	v_lshl_add_u64 v[2:3], v[2:3], 0, v[10:11]
	;; [unrolled: 1-line block ×15, first 2 shown]
	v_mov_b32_e32 v7, v4
	v_cmp_eq_u32_e32 vcc, 0, v59
	v_mov_b32_dpp v6, v2 quad_perm:[1,0,3,2] row_mask:0xf bank_mask:0xf
	v_mov_b32_dpp v5, v3 quad_perm:[1,0,3,2] row_mask:0xf bank_mask:0xf
	v_lshl_add_u64 v[2:3], v[2:3], 0, v[6:7]
	v_lshl_add_u64 v[6:7], v[2:3], 0, v[4:5]
	v_mov_b32_e32 v3, v4
	v_mov_b32_dpp v2, v2 quad_perm:[2,3,0,1] row_mask:0xf bank_mask:0xf
	v_mov_b32_dpp v5, v7 quad_perm:[2,3,0,1] row_mask:0xf bank_mask:0xf
	v_lshl_add_u64 v[2:3], v[6:7], 0, v[2:3]
	v_lshl_add_u64 v[6:7], v[2:3], 0, v[4:5]
	v_mov_b32_e32 v3, v4
	v_mov_b32_dpp v2, v2 row_ror:4 row_mask:0xf bank_mask:0xf
	v_mov_b32_dpp v5, v7 row_ror:4 row_mask:0xf bank_mask:0xf
	v_lshl_add_u64 v[2:3], v[6:7], 0, v[2:3]
	v_lshl_add_u64 v[6:7], v[2:3], 0, v[4:5]
	v_mov_b32_e32 v3, v4
	v_mov_b32_dpp v2, v2 row_ror:8 row_mask:0xf bank_mask:0xf
	v_mov_b32_dpp v5, v7 row_ror:8 row_mask:0xf bank_mask:0xf
	v_lshl_add_u64 v[2:3], v[6:7], 0, v[2:3]
	v_lshl_add_u64 v[6:7], v[2:3], 0, v[4:5]
	v_mov_b32_e32 v3, v4
	v_mov_b32_dpp v2, v2 row_bcast:15 row_mask:0xf bank_mask:0xf
	v_mov_b32_dpp v5, v7 row_bcast:15 row_mask:0xf bank_mask:0xf
	v_lshl_add_u64 v[2:3], v[6:7], 0, v[2:3]
	v_lshl_add_u64 v[6:7], v[2:3], 0, v[4:5]
	v_mov_b32_e32 v3, v4
	v_mov_b32_dpp v2, v2 row_bcast:31 row_mask:0xf bank_mask:0xf
	v_mov_b32_dpp v5, v7 row_bcast:31 row_mask:0xf bank_mask:0xf
	v_lshl_add_u64 v[2:3], v[6:7], 0, v[2:3]
	v_add_u32_e32 v3, v5, v3
	ds_bpermute_b32 v2, v60, v2
	ds_bpermute_b32 v3, v60, v3
	s_waitcnt lgkmcnt(0)
	s_barrier
	s_and_saveexec_b64 s[4:5], vcc
	s_cbranch_execz .LBB33_26
; %bb.25:                               ;   in Loop: Header=BB33_6 Depth=1
	ds_write_b64 v58, v[2:3]
.LBB33_26:                              ;   in Loop: Header=BB33_6 Depth=1
	s_or_b64 exec, exec, s[4:5]
	s_waitcnt lgkmcnt(0)
	s_barrier
	s_and_saveexec_b64 s[4:5], s[0:1]
	s_cbranch_execz .LBB33_28
; %bb.27:                               ;   in Loop: Header=BB33_6 Depth=1
	v_and_b32_e32 v8, 3, v59
	v_lshlrev_b32_e32 v2, 3, v8
	ds_read_b64 v[2:3], v2
	v_cmp_ne_u32_e32 vcc, 3, v8
	v_mov_b32_e32 v7, v4
	s_nop 0
	v_addc_co_u32_e32 v5, vcc, 0, v59, vcc
	v_lshlrev_b32_e32 v5, 2, v5
	s_waitcnt lgkmcnt(0)
	ds_bpermute_b32 v6, v5, v2
	ds_bpermute_b32 v5, v5, v3
	v_cmp_gt_u32_e32 vcc, 2, v8
	s_waitcnt lgkmcnt(1)
	v_lshl_add_u64 v[2:3], v[2:3], 0, v[6:7]
	v_cndmask_b32_e64 v8, 0, 1, vcc
	s_waitcnt lgkmcnt(0)
	v_lshl_add_u64 v[6:7], v[4:5], 0, v[2:3]
	v_lshlrev_b32_e32 v3, 1, v8
	v_add_lshl_u32 v3, v3, v59, 2
	ds_bpermute_b32 v2, v3, v2
	ds_bpermute_b32 v5, v3, v7
	v_mov_b32_e32 v3, v4
	s_waitcnt lgkmcnt(1)
	v_lshl_add_u64 v[2:3], v[6:7], 0, v[2:3]
	s_waitcnt lgkmcnt(0)
	v_lshl_add_u64 v[2:3], v[2:3], 0, v[4:5]
.LBB33_28:                              ;   in Loop: Header=BB33_6 Depth=1
	s_or_b64 exec, exec, s[4:5]
	s_mov_b64 s[4:5], 0
.LBB33_29:                              ;   in Loop: Header=BB33_6 Depth=1
	s_and_b64 vcc, exec, s[4:5]
	s_cbranch_vccz .LBB33_35
; %bb.30:                               ;   in Loop: Header=BB33_6 Depth=1
	global_load_dwordx2 v[2:3], v[42:43], off
	global_load_dwordx2 v[6:7], v[42:43], off offset:2048
	v_add_co_u32_e32 v16, vcc, 0x1000, v42
	v_mov_b32_e32 v67, v4
	s_nop 0
	v_addc_co_u32_e32 v17, vcc, 0, v43, vcc
	v_add_co_u32_e32 v18, vcc, 0x2000, v42
	v_mov_b32_e32 v69, v4
	s_nop 0
	v_addc_co_u32_e32 v19, vcc, 0, v43, vcc
	global_load_dwordx2 v[8:9], v[16:17], off
	global_load_dwordx2 v[10:11], v[16:17], off offset:2048
	global_load_dwordx2 v[12:13], v[18:19], off
	global_load_dwordx2 v[14:15], v[18:19], off offset:2048
	v_add_co_u32_e32 v20, vcc, 0x3000, v42
	v_mov_b32_e32 v71, v4
	s_nop 0
	v_addc_co_u32_e32 v21, vcc, 0, v43, vcc
	v_add_co_u32_e32 v16, vcc, 0x4000, v42
	s_waitcnt vmcnt(4)
	v_lshl_add_u64 v[2:3], v[6:7], 0, v[2:3]
	v_addc_co_u32_e32 v17, vcc, 0, v43, vcc
	global_load_dwordx2 v[26:27], v[20:21], off
	global_load_dwordx2 v[28:29], v[20:21], off offset:2048
	global_load_dwordx2 v[30:31], v[16:17], off
	global_load_dwordx2 v[32:33], v[16:17], off offset:2048
	v_add_co_u32_e32 v18, vcc, 0x5000, v42
	s_mov_b64 s[4:5], vcc
	v_add_co_u32_e32 v22, vcc, 0x6000, v42
	s_mov_b64 s[6:7], vcc
	v_add_co_u32_e32 v24, vcc, 0x7000, v42
	s_waitcnt vmcnt(7)
	v_lshl_add_u64 v[2:3], v[2:3], 0, v[8:9]
	v_addc_co_u32_e32 v25, vcc, 0, v43, vcc
	v_addc_co_u32_e64 v19, vcc, 0, v43, s[4:5]
	v_addc_co_u32_e64 v23, vcc, 0, v43, s[6:7]
	global_load_dwordx2 v[16:17], v[18:19], off
	global_load_dwordx2 v[20:21], v[18:19], off offset:2048
	global_load_dwordx2 v[34:35], v[22:23], off
	global_load_dwordx2 v[36:37], v[22:23], off offset:2048
	;; [unrolled: 2-line block ×3, first 2 shown]
	s_waitcnt vmcnt(12)
	v_lshl_add_u64 v[2:3], v[2:3], 0, v[10:11]
	s_waitcnt vmcnt(11)
	v_lshl_add_u64 v[2:3], v[2:3], 0, v[12:13]
	;; [unrolled: 2-line block ×3, first 2 shown]
	v_mov_b32_e32 v19, v4
	v_mov_b32_e32 v23, v4
	;; [unrolled: 1-line block ×3, first 2 shown]
	v_cmp_eq_u32_e32 vcc, 0, v59
	s_barrier
	s_waitcnt vmcnt(9)
	v_lshl_add_u64 v[2:3], v[2:3], 0, v[26:27]
	s_waitcnt vmcnt(8)
	v_lshl_add_u64 v[2:3], v[2:3], 0, v[28:29]
	;; [unrolled: 2-line block ×10, first 2 shown]
	s_nop 1
	v_mov_b32_dpp v18, v2 quad_perm:[1,0,3,2] row_mask:0xf bank_mask:0xf
	v_mov_b32_dpp v5, v3 quad_perm:[1,0,3,2] row_mask:0xf bank_mask:0xf
	v_lshl_add_u64 v[2:3], v[2:3], 0, v[18:19]
	v_lshl_add_u64 v[6:7], v[4:5], 0, v[2:3]
	s_nop 0
	v_mov_b32_dpp v22, v2 quad_perm:[2,3,0,1] row_mask:0xf bank_mask:0xf
	v_mov_b32_dpp v5, v7 quad_perm:[2,3,0,1] row_mask:0xf bank_mask:0xf
	v_lshl_add_u64 v[2:3], v[6:7], 0, v[22:23]
	v_lshl_add_u64 v[6:7], v[2:3], 0, v[4:5]
	s_nop 0
	v_mov_b32_dpp v24, v2 row_ror:4 row_mask:0xf bank_mask:0xf
	v_mov_b32_dpp v5, v7 row_ror:4 row_mask:0xf bank_mask:0xf
	v_lshl_add_u64 v[2:3], v[6:7], 0, v[24:25]
	v_lshl_add_u64 v[6:7], v[2:3], 0, v[4:5]
	s_nop 0
	v_mov_b32_dpp v66, v2 row_ror:8 row_mask:0xf bank_mask:0xf
	v_mov_b32_dpp v5, v7 row_ror:8 row_mask:0xf bank_mask:0xf
	v_lshl_add_u64 v[2:3], v[6:7], 0, v[66:67]
	v_lshl_add_u64 v[6:7], v[2:3], 0, v[4:5]
	s_nop 0
	v_mov_b32_dpp v68, v2 row_bcast:15 row_mask:0xf bank_mask:0xf
	v_mov_b32_dpp v5, v7 row_bcast:15 row_mask:0xf bank_mask:0xf
	v_lshl_add_u64 v[2:3], v[6:7], 0, v[68:69]
	v_lshl_add_u64 v[6:7], v[2:3], 0, v[4:5]
	s_nop 0
	v_mov_b32_dpp v70, v2 row_bcast:31 row_mask:0xf bank_mask:0xf
	v_mov_b32_dpp v5, v7 row_bcast:31 row_mask:0xf bank_mask:0xf
	v_lshl_add_u64 v[2:3], v[6:7], 0, v[70:71]
	v_add_u32_e32 v3, v5, v3
	ds_bpermute_b32 v2, v60, v2
	ds_bpermute_b32 v3, v60, v3
	s_and_saveexec_b64 s[4:5], vcc
	s_cbranch_execz .LBB33_32
; %bb.31:                               ;   in Loop: Header=BB33_6 Depth=1
	s_waitcnt lgkmcnt(0)
	ds_write_b64 v58, v[2:3]
.LBB33_32:                              ;   in Loop: Header=BB33_6 Depth=1
	s_or_b64 exec, exec, s[4:5]
	s_waitcnt lgkmcnt(0)
	s_barrier
	s_and_saveexec_b64 s[4:5], s[0:1]
	s_cbranch_execz .LBB33_34
; %bb.33:                               ;   in Loop: Header=BB33_6 Depth=1
	v_and_b32_e32 v8, 3, v59
	v_lshlrev_b32_e32 v2, 3, v8
	ds_read_b64 v[2:3], v2
	v_cmp_ne_u32_e32 vcc, 3, v8
	v_mov_b32_e32 v7, v4
	s_nop 0
	v_addc_co_u32_e32 v5, vcc, 0, v59, vcc
	v_lshlrev_b32_e32 v5, 2, v5
	s_waitcnt lgkmcnt(0)
	ds_bpermute_b32 v6, v5, v2
	ds_bpermute_b32 v5, v5, v3
	v_cmp_gt_u32_e32 vcc, 2, v8
	s_waitcnt lgkmcnt(1)
	v_lshl_add_u64 v[2:3], v[2:3], 0, v[6:7]
	v_cndmask_b32_e64 v8, 0, 1, vcc
	s_waitcnt lgkmcnt(0)
	v_lshl_add_u64 v[6:7], v[4:5], 0, v[2:3]
	v_lshlrev_b32_e32 v3, 1, v8
	v_add_lshl_u32 v3, v3, v59, 2
	ds_bpermute_b32 v2, v3, v2
	ds_bpermute_b32 v5, v3, v7
	v_mov_b32_e32 v3, v4
	s_waitcnt lgkmcnt(1)
	v_lshl_add_u64 v[2:3], v[6:7], 0, v[2:3]
	s_waitcnt lgkmcnt(0)
	v_lshl_add_u64 v[2:3], v[2:3], 0, v[4:5]
.LBB33_34:                              ;   in Loop: Header=BB33_6 Depth=1
	s_or_b64 exec, exec, s[4:5]
.LBB33_35:                              ;   in Loop: Header=BB33_6 Depth=1
	v_lshl_add_u64 v[38:39], v[2:3], 0, v[38:39]
	v_mov_b64_e32 v[2:3], 0x1001
	v_cmp_lt_i64_e32 vcc, s[12:13], v[2:3]
	s_cbranch_vccz .LBB33_5
; %bb.36:
                                        ; implicit-def: $sgpr18
                                        ; implicit-def: $sgpr12_sgpr13
                                        ; implicit-def: $sgpr17
                                        ; implicit-def: $vgpr42_vgpr43
	s_branch .LBB33_52
.LBB33_37:                              ;   in Loop: Header=BB33_6 Depth=1
	global_load_dwordx2 v[2:3], v[42:43], off
	v_mov_b32_e32 v6, v4
	v_mov_b32_e32 v7, v4
	;; [unrolled: 1-line block ×29, first 2 shown]
	s_waitcnt vmcnt(0)
	v_mov_b64_e32 v[36:37], v[32:33]
	v_mov_b64_e32 v[34:35], v[30:31]
	v_mov_b64_e32 v[32:33], v[28:29]
	v_mov_b64_e32 v[30:31], v[26:27]
	v_mov_b64_e32 v[28:29], v[24:25]
	v_mov_b64_e32 v[26:27], v[22:23]
	v_mov_b64_e32 v[24:25], v[20:21]
	v_mov_b64_e32 v[22:23], v[18:19]
	v_mov_b64_e32 v[20:21], v[16:17]
	v_mov_b64_e32 v[18:19], v[14:15]
	v_mov_b64_e32 v[16:17], v[12:13]
	v_mov_b64_e32 v[14:15], v[10:11]
	v_mov_b64_e32 v[12:13], v[8:9]
	v_mov_b64_e32 v[10:11], v[6:7]
	v_mov_b64_e32 v[8:9], v[4:5]
	v_mov_b64_e32 v[6:7], v[2:3]
	s_or_b64 exec, exec, s[4:5]
	v_cmp_gt_u32_e32 vcc, s17, v1
	s_and_saveexec_b64 s[4:5], vcc
	s_cbranch_execz .LBB33_9
.LBB33_38:                              ;   in Loop: Header=BB33_6 Depth=1
	global_load_dwordx2 v[8:9], v[42:43], off offset:2048
	s_or_b64 exec, exec, s[4:5]
	v_cmp_gt_u32_e32 vcc, s17, v44
	s_and_saveexec_b64 s[4:5], vcc
	s_cbranch_execz .LBB33_10
.LBB33_39:                              ;   in Loop: Header=BB33_6 Depth=1
	v_add_co_u32_e32 v2, vcc, 0x1000, v42
	s_nop 1
	v_addc_co_u32_e32 v3, vcc, 0, v43, vcc
	global_load_dwordx2 v[10:11], v[2:3], off
	s_or_b64 exec, exec, s[4:5]
	v_cmp_gt_u32_e32 vcc, s17, v45
	s_and_saveexec_b64 s[4:5], vcc
	s_cbranch_execz .LBB33_11
.LBB33_40:                              ;   in Loop: Header=BB33_6 Depth=1
	v_add_co_u32_e32 v2, vcc, 0x1000, v42
	s_nop 1
	v_addc_co_u32_e32 v3, vcc, 0, v43, vcc
	global_load_dwordx2 v[12:13], v[2:3], off offset:2048
	s_or_b64 exec, exec, s[4:5]
	v_cmp_gt_u32_e32 vcc, s17, v46
	s_and_saveexec_b64 s[4:5], vcc
	s_cbranch_execz .LBB33_12
.LBB33_41:                              ;   in Loop: Header=BB33_6 Depth=1
	v_add_co_u32_e32 v2, vcc, 0x2000, v42
	s_nop 1
	v_addc_co_u32_e32 v3, vcc, 0, v43, vcc
	global_load_dwordx2 v[14:15], v[2:3], off
	s_or_b64 exec, exec, s[4:5]
	v_cmp_gt_u32_e32 vcc, s17, v47
	s_and_saveexec_b64 s[4:5], vcc
	s_cbranch_execz .LBB33_13
.LBB33_42:                              ;   in Loop: Header=BB33_6 Depth=1
	v_add_co_u32_e32 v2, vcc, 0x2000, v42
	s_nop 1
	v_addc_co_u32_e32 v3, vcc, 0, v43, vcc
	global_load_dwordx2 v[16:17], v[2:3], off offset:2048
	s_or_b64 exec, exec, s[4:5]
	v_cmp_gt_u32_e32 vcc, s17, v48
	s_and_saveexec_b64 s[4:5], vcc
	s_cbranch_execz .LBB33_14
.LBB33_43:                              ;   in Loop: Header=BB33_6 Depth=1
	v_add_co_u32_e32 v2, vcc, 0x3000, v42
	s_nop 1
	v_addc_co_u32_e32 v3, vcc, 0, v43, vcc
	global_load_dwordx2 v[18:19], v[2:3], off
	s_or_b64 exec, exec, s[4:5]
	v_cmp_gt_u32_e32 vcc, s17, v49
	s_and_saveexec_b64 s[4:5], vcc
	s_cbranch_execz .LBB33_15
.LBB33_44:                              ;   in Loop: Header=BB33_6 Depth=1
	v_add_co_u32_e32 v2, vcc, 0x3000, v42
	s_nop 1
	v_addc_co_u32_e32 v3, vcc, 0, v43, vcc
	global_load_dwordx2 v[20:21], v[2:3], off offset:2048
	s_or_b64 exec, exec, s[4:5]
	v_cmp_gt_u32_e32 vcc, s17, v50
	s_and_saveexec_b64 s[4:5], vcc
	s_cbranch_execz .LBB33_16
.LBB33_45:                              ;   in Loop: Header=BB33_6 Depth=1
	v_add_co_u32_e32 v2, vcc, 0x4000, v42
	s_nop 1
	v_addc_co_u32_e32 v3, vcc, 0, v43, vcc
	global_load_dwordx2 v[22:23], v[2:3], off
	s_or_b64 exec, exec, s[4:5]
	v_cmp_gt_u32_e32 vcc, s17, v51
	s_and_saveexec_b64 s[4:5], vcc
	s_cbranch_execz .LBB33_17
.LBB33_46:                              ;   in Loop: Header=BB33_6 Depth=1
	v_add_co_u32_e32 v2, vcc, 0x4000, v42
	s_nop 1
	v_addc_co_u32_e32 v3, vcc, 0, v43, vcc
	global_load_dwordx2 v[24:25], v[2:3], off offset:2048
	s_or_b64 exec, exec, s[4:5]
	v_cmp_gt_u32_e32 vcc, s17, v52
	s_and_saveexec_b64 s[4:5], vcc
	s_cbranch_execz .LBB33_18
.LBB33_47:                              ;   in Loop: Header=BB33_6 Depth=1
	v_add_co_u32_e32 v2, vcc, 0x5000, v42
	s_nop 1
	v_addc_co_u32_e32 v3, vcc, 0, v43, vcc
	global_load_dwordx2 v[26:27], v[2:3], off
	s_or_b64 exec, exec, s[4:5]
	v_cmp_gt_u32_e32 vcc, s17, v53
	s_and_saveexec_b64 s[4:5], vcc
	s_cbranch_execz .LBB33_19
.LBB33_48:                              ;   in Loop: Header=BB33_6 Depth=1
	v_add_co_u32_e32 v2, vcc, 0x5000, v42
	s_nop 1
	v_addc_co_u32_e32 v3, vcc, 0, v43, vcc
	global_load_dwordx2 v[28:29], v[2:3], off offset:2048
	s_or_b64 exec, exec, s[4:5]
	v_cmp_gt_u32_e32 vcc, s17, v54
	s_and_saveexec_b64 s[4:5], vcc
	s_cbranch_execz .LBB33_20
.LBB33_49:                              ;   in Loop: Header=BB33_6 Depth=1
	v_add_co_u32_e32 v2, vcc, 0x6000, v42
	s_nop 1
	v_addc_co_u32_e32 v3, vcc, 0, v43, vcc
	global_load_dwordx2 v[30:31], v[2:3], off
	s_or_b64 exec, exec, s[4:5]
	v_cmp_gt_u32_e32 vcc, s17, v55
	s_and_saveexec_b64 s[4:5], vcc
	s_cbranch_execz .LBB33_21
.LBB33_50:                              ;   in Loop: Header=BB33_6 Depth=1
	v_add_co_u32_e32 v2, vcc, 0x6000, v42
	s_nop 1
	v_addc_co_u32_e32 v3, vcc, 0, v43, vcc
	global_load_dwordx2 v[32:33], v[2:3], off offset:2048
	s_or_b64 exec, exec, s[4:5]
	v_cmp_gt_u32_e32 vcc, s17, v56
	s_and_saveexec_b64 s[4:5], vcc
	s_cbranch_execz .LBB33_22
.LBB33_51:                              ;   in Loop: Header=BB33_6 Depth=1
	v_add_co_u32_e32 v2, vcc, 0x7000, v42
	s_nop 1
	v_addc_co_u32_e32 v3, vcc, 0, v43, vcc
	global_load_dwordx2 v[34:35], v[2:3], off
	s_or_b64 exec, exec, s[4:5]
	v_cmp_gt_u32_e32 vcc, s17, v57
	s_and_saveexec_b64 s[4:5], vcc
	s_cbranch_execnz .LBB33_23
	s_branch .LBB33_24
.LBB33_52:
	v_cmp_eq_u32_e32 vcc, 0, v0
	s_xor_b64 s[0:1], s[14:15], -1
	s_and_b64 s[0:1], vcc, s[0:1]
	s_and_saveexec_b64 s[4:5], s[0:1]
	s_cbranch_execz .LBB33_54
; %bb.53:
	s_lshl_b64 s[0:1], s[2:3], 3
	s_waitcnt lgkmcnt(0)
	s_add_u32 s0, s10, s0
	s_addc_u32 s1, s11, s1
	v_mov_b32_e32 v0, 0
	global_store_dwordx2 v0, v[38:39], s[0:1]
.LBB33_54:
	s_endpgm
	.section	.rodata,"a",@progbits
	.p2align	6, 0x0
	.amdhsa_kernel _ZN2at4cuda3cub15calc_block_sumsILi256ELi16ELb0EllEEvPKT2_PT3_li
		.amdhsa_group_segment_fixed_size 32
		.amdhsa_private_segment_fixed_size 0
		.amdhsa_kernarg_size 28
		.amdhsa_user_sgpr_count 2
		.amdhsa_user_sgpr_dispatch_ptr 0
		.amdhsa_user_sgpr_queue_ptr 0
		.amdhsa_user_sgpr_kernarg_segment_ptr 1
		.amdhsa_user_sgpr_dispatch_id 0
		.amdhsa_user_sgpr_kernarg_preload_length 0
		.amdhsa_user_sgpr_kernarg_preload_offset 0
		.amdhsa_user_sgpr_private_segment_size 0
		.amdhsa_uses_dynamic_stack 0
		.amdhsa_enable_private_segment 0
		.amdhsa_system_sgpr_workgroup_id_x 1
		.amdhsa_system_sgpr_workgroup_id_y 0
		.amdhsa_system_sgpr_workgroup_id_z 0
		.amdhsa_system_sgpr_workgroup_info 0
		.amdhsa_system_vgpr_workitem_id 0
		.amdhsa_next_free_vgpr 72
		.amdhsa_next_free_sgpr 68
		.amdhsa_accum_offset 72
		.amdhsa_reserve_vcc 1
		.amdhsa_float_round_mode_32 0
		.amdhsa_float_round_mode_16_64 0
		.amdhsa_float_denorm_mode_32 3
		.amdhsa_float_denorm_mode_16_64 3
		.amdhsa_dx10_clamp 1
		.amdhsa_ieee_mode 1
		.amdhsa_fp16_overflow 0
		.amdhsa_tg_split 0
		.amdhsa_exception_fp_ieee_invalid_op 0
		.amdhsa_exception_fp_denorm_src 0
		.amdhsa_exception_fp_ieee_div_zero 0
		.amdhsa_exception_fp_ieee_overflow 0
		.amdhsa_exception_fp_ieee_underflow 0
		.amdhsa_exception_fp_ieee_inexact 0
		.amdhsa_exception_int_div_zero 0
	.end_amdhsa_kernel
	.section	.text._ZN2at4cuda3cub15calc_block_sumsILi256ELi16ELb0EllEEvPKT2_PT3_li,"axG",@progbits,_ZN2at4cuda3cub15calc_block_sumsILi256ELi16ELb0EllEEvPKT2_PT3_li,comdat
.Lfunc_end33:
	.size	_ZN2at4cuda3cub15calc_block_sumsILi256ELi16ELb0EllEEvPKT2_PT3_li, .Lfunc_end33-_ZN2at4cuda3cub15calc_block_sumsILi256ELi16ELb0EllEEvPKT2_PT3_li
                                        ; -- End function
	.section	.AMDGPU.csdata,"",@progbits
; Kernel info:
; codeLenInByte = 3176
; NumSgprs: 74
; NumVgprs: 72
; NumAgprs: 0
; TotalNumVgprs: 72
; ScratchSize: 0
; MemoryBound: 1
; FloatMode: 240
; IeeeMode: 1
; LDSByteSize: 32 bytes/workgroup (compile time only)
; SGPRBlocks: 9
; VGPRBlocks: 8
; NumSGPRsForWavesPerEU: 74
; NumVGPRsForWavesPerEU: 72
; AccumOffset: 72
; Occupancy: 7
; WaveLimiterHint : 1
; COMPUTE_PGM_RSRC2:SCRATCH_EN: 0
; COMPUTE_PGM_RSRC2:USER_SGPR: 2
; COMPUTE_PGM_RSRC2:TRAP_HANDLER: 0
; COMPUTE_PGM_RSRC2:TGID_X_EN: 1
; COMPUTE_PGM_RSRC2:TGID_Y_EN: 0
; COMPUTE_PGM_RSRC2:TGID_Z_EN: 0
; COMPUTE_PGM_RSRC2:TIDIG_COMP_CNT: 0
; COMPUTE_PGM_RSRC3_GFX90A:ACCUM_OFFSET: 17
; COMPUTE_PGM_RSRC3_GFX90A:TG_SPLIT: 0
	.section	.text._ZN2at4cuda3cub17final_scan_kernelILi256ELi16ElEEvPKT1_PS3_S6_li,"axG",@progbits,_ZN2at4cuda3cub17final_scan_kernelILi256ELi16ElEEvPKT1_PS3_S6_li,comdat
	.protected	_ZN2at4cuda3cub17final_scan_kernelILi256ELi16ElEEvPKT1_PS3_S6_li ; -- Begin function _ZN2at4cuda3cub17final_scan_kernelILi256ELi16ElEEvPKT1_PS3_S6_li
	.globl	_ZN2at4cuda3cub17final_scan_kernelILi256ELi16ElEEvPKT1_PS3_S6_li
	.p2align	8
	.type	_ZN2at4cuda3cub17final_scan_kernelILi256ELi16ElEEvPKT1_PS3_S6_li,@function
_ZN2at4cuda3cub17final_scan_kernelILi256ELi16ElEEvPKT1_PS3_S6_li: ; @_ZN2at4cuda3cub17final_scan_kernelILi256ELi16ElEEvPKT1_PS3_S6_li
; %bb.0:
	s_load_dword s33, s[0:1], 0x20
	s_load_dwordx8 s[40:47], s[0:1], 0x0
	s_waitcnt lgkmcnt(0)
	s_lshl_b32 s3, s33, 12
	s_ashr_i32 s4, s3, 31
	s_mul_hi_u32 s5, s3, s2
	s_mul_i32 s4, s4, s2
	s_add_i32 s31, s5, s4
	s_mul_i32 s30, s3, s2
	s_sub_u32 s34, s46, s30
	s_subb_u32 s35, s47, s31
	v_cmp_lt_i64_e64 s[4:5], s[34:35], 1
	s_and_b64 vcc, exec, s[4:5]
	s_cbranch_vccnz .LBB34_100
; %bb.1:
	v_cmp_gt_u32_e32 vcc, s2, v0
	v_mov_b64_e32 v[2:3], 0
	v_lshlrev_b32_e32 v80, 3, v0
	s_and_saveexec_b64 s[4:5], vcc
	s_cbranch_execz .LBB34_3
; %bb.2:
	global_load_dwordx2 v[2:3], v80, s[44:45]
.LBB34_3:
	s_or_b64 exec, exec, s[4:5]
	s_load_dword s0, s[0:1], 0x34
	s_waitcnt lgkmcnt(0)
	s_and_b32 s3, s0, 0xffff
	v_add_u32_e32 v4, s3, v0
	v_cmp_gt_u32_e32 vcc, s2, v4
	s_and_saveexec_b64 s[0:1], vcc
	s_cbranch_execz .LBB34_7
; %bb.4:
	s_mov_b64 s[4:5], 0
	v_mov_b32_e32 v5, 0
.LBB34_5:                               ; =>This Inner Loop Header: Depth=1
	v_lshl_add_u64 v[6:7], v[4:5], 3, s[44:45]
	global_load_dwordx2 v[6:7], v[6:7], off
	v_add_u32_e32 v4, s3, v4
	v_cmp_le_u32_e32 vcc, s2, v4
	s_or_b64 s[4:5], vcc, s[4:5]
	s_waitcnt vmcnt(0)
	v_lshl_add_u64 v[2:3], v[6:7], 0, v[2:3]
	s_andn2_b64 exec, exec, s[4:5]
	s_cbranch_execnz .LBB34_5
; %bb.6:
	s_or_b64 exec, exec, s[4:5]
.LBB34_7:
	s_or_b64 exec, exec, s[0:1]
	v_mov_b32_e32 v4, 0
	s_waitcnt vmcnt(0)
	v_mov_b32_dpp v6, v2 quad_perm:[1,0,3,2] row_mask:0xf bank_mask:0xf
	v_mov_b32_e32 v7, v4
	v_mov_b32_dpp v5, v3 quad_perm:[1,0,3,2] row_mask:0xf bank_mask:0xf
	v_lshl_add_u64 v[2:3], v[2:3], 0, v[6:7]
	v_lshl_add_u64 v[6:7], v[4:5], 0, v[2:3]
	v_mov_b32_e32 v3, v4
	v_mov_b32_dpp v2, v2 quad_perm:[2,3,0,1] row_mask:0xf bank_mask:0xf
	v_mov_b32_dpp v5, v7 quad_perm:[2,3,0,1] row_mask:0xf bank_mask:0xf
	v_lshl_add_u64 v[2:3], v[6:7], 0, v[2:3]
	v_lshl_add_u64 v[6:7], v[2:3], 0, v[4:5]
	v_mov_b32_e32 v3, v4
	v_mov_b32_dpp v2, v2 row_ror:4 row_mask:0xf bank_mask:0xf
	v_mov_b32_dpp v5, v7 row_ror:4 row_mask:0xf bank_mask:0xf
	v_lshl_add_u64 v[2:3], v[6:7], 0, v[2:3]
	v_lshl_add_u64 v[6:7], v[2:3], 0, v[4:5]
	v_mov_b32_e32 v3, v4
	v_mov_b32_dpp v2, v2 row_ror:8 row_mask:0xf bank_mask:0xf
	v_mov_b32_dpp v5, v7 row_ror:8 row_mask:0xf bank_mask:0xf
	v_lshl_add_u64 v[2:3], v[6:7], 0, v[2:3]
	v_lshl_add_u64 v[6:7], v[2:3], 0, v[4:5]
	v_mov_b32_e32 v3, v4
	v_mov_b32_dpp v2, v2 row_bcast:15 row_mask:0xf bank_mask:0xf
	v_mov_b32_dpp v5, v7 row_bcast:15 row_mask:0xf bank_mask:0xf
	v_lshl_add_u64 v[2:3], v[6:7], 0, v[2:3]
	v_mbcnt_lo_u32_b32 v1, -1, 0
	v_lshl_add_u64 v[6:7], v[2:3], 0, v[4:5]
	v_mov_b32_dpp v2, v2 row_bcast:31 row_mask:0xf bank_mask:0xf
	v_mov_b32_e32 v3, v4
	v_mbcnt_hi_u32_b32 v1, -1, v1
	v_mov_b32_dpp v5, v7 row_bcast:31 row_mask:0xf bank_mask:0xf
	v_lshl_add_u64 v[2:3], v[6:7], 0, v[2:3]
	v_bfrev_b32_e32 v4, 0.5
	v_add_u32_e32 v3, v5, v3
	v_lshl_or_b32 v4, v1, 2, v4
	ds_bpermute_b32 v36, v4, v2
	ds_bpermute_b32 v37, v4, v3
	v_cmp_ne_u32_e64 s[0:1], 0, v1
	v_cmp_eq_u32_e64 s[2:3], 0, v1
	s_and_saveexec_b64 s[4:5], s[2:3]
	s_cbranch_execz .LBB34_9
; %bb.8:
	v_lshrrev_b32_e32 v2, 3, v0
	v_and_b32_e32 v2, 0x78, v2
	s_waitcnt lgkmcnt(0)
	ds_write_b64 v2, v[36:37]
.LBB34_9:
	s_or_b64 exec, exec, s[4:5]
	v_cmp_lt_u32_e64 s[4:5], 63, v0
	v_cmp_gt_u32_e64 s[6:7], 64, v0
	v_and_b32_e32 v2, 3, v1
	s_waitcnt lgkmcnt(0)
	s_barrier
	s_and_saveexec_b64 s[8:9], s[6:7]
	s_cbranch_execz .LBB34_11
; %bb.10:
	v_lshlrev_b32_e32 v3, 3, v2
	ds_read_b64 v[4:5], v3
	v_cmp_ne_u32_e32 vcc, 3, v2
	v_mov_b32_e32 v8, 0
	v_mov_b32_e32 v7, v8
	v_addc_co_u32_e32 v3, vcc, 0, v1, vcc
	v_lshlrev_b32_e32 v3, 2, v3
	s_waitcnt lgkmcnt(0)
	ds_bpermute_b32 v6, v3, v4
	ds_bpermute_b32 v9, v3, v5
	v_cmp_gt_u32_e32 vcc, 2, v2
	s_waitcnt lgkmcnt(1)
	v_lshl_add_u64 v[4:5], v[4:5], 0, v[6:7]
	v_cndmask_b32_e64 v3, 0, 1, vcc
	v_lshlrev_b32_e32 v3, 1, v3
	v_add_lshl_u32 v3, v3, v1, 2
	s_waitcnt lgkmcnt(0)
	v_lshl_add_u64 v[6:7], v[8:9], 0, v[4:5]
	ds_bpermute_b32 v4, v3, v4
	ds_bpermute_b32 v9, v3, v7
	v_mov_b32_e32 v5, v8
	s_waitcnt lgkmcnt(1)
	v_lshl_add_u64 v[4:5], v[6:7], 0, v[4:5]
	s_waitcnt lgkmcnt(0)
	v_lshl_add_u64 v[36:37], v[4:5], 0, v[8:9]
.LBB34_11:
	s_or_b64 exec, exec, s[8:9]
	s_cmp_lt_i32 s33, 1
	s_barrier
	s_cbranch_scc1 .LBB34_100
; %bb.12:
	v_lshlrev_b32_e32 v3, 4, v0
	s_movk_i32 s8, 0x3c00
	v_and_or_b32 v81, v3, s8, v1
	v_add_u32_e32 v82, 64, v81
	v_lshrrev_b32_e32 v3, 5, v81
	v_or_b32_e32 v83, 0x80, v81
	v_add_lshl_u32 v97, v3, v81, 3
	v_lshrrev_b32_e32 v3, 5, v82
	v_add_u32_e32 v84, 0xc0, v81
	v_add_lshl_u32 v98, v3, v82, 3
	v_lshrrev_b32_e32 v3, 5, v83
	v_or_b32_e32 v85, 0x100, v81
	v_add_lshl_u32 v99, v3, v83, 3
	v_lshrrev_b32_e32 v3, 5, v84
	v_add_u32_e32 v86, 0x140, v81
	v_add_lshl_u32 v100, v3, v84, 3
	;; [unrolled: 6-line block ×7, first 2 shown]
	v_lshrrev_b32_e32 v3, 5, v95
	v_add_lshl_u32 v111, v3, v95, 3
	v_lshrrev_b32_e32 v3, 5, v96
	v_add_lshl_u32 v112, v3, v96, 3
	v_and_b32_e32 v3, 0x3c0, v0
	v_add_u32_e32 v4, v1, v3
	v_min_u32_e32 v3, 0xc0, v3
	v_or_b32_e32 v3, 63, v3
	v_lshlrev_b32_e32 v5, 4, v4
	v_bfe_u32 v4, v4, 1, 27
	v_cmp_eq_u32_e64 s[20:21], v3, v0
	v_cmp_eq_u32_e64 s[24:25], 0, v2
	v_cmp_lt_u32_e64 s[26:27], 1, v2
	v_add_u32_e32 v2, -1, v1
	v_and_b32_e32 v3, 64, v1
	v_add_lshl_u32 v113, v4, v5, 3
	v_and_b32_e32 v4, 15, v1
	v_cmp_lt_i32_e32 vcc, v2, v3
	v_cmp_eq_u32_e64 s[8:9], 0, v4
	v_cmp_lt_u32_e64 s[10:11], 1, v4
	v_cmp_lt_u32_e64 s[12:13], 3, v4
	;; [unrolled: 1-line block ×3, first 2 shown]
	v_and_b32_e32 v4, 16, v1
	v_cndmask_b32_e32 v2, v2, v1, vcc
	v_cmp_eq_u32_e64 s[16:17], 0, v4
	v_lshrrev_b32_e32 v4, 6, v0
	v_lshlrev_b32_e32 v116, 2, v2
	v_mov_b32_e32 v2, 0
	v_cmp_lt_u32_e64 s[18:19], 31, v1
	v_cmp_gt_u32_e64 s[22:23], 4, v0
	v_cmp_eq_u32_e64 s[28:29], 0, v0
	v_lshlrev_b32_e32 v38, 3, v1
	v_lshlrev_b32_e32 v0, 13, v4
	v_mov_b32_e32 v1, v2
	v_lshlrev_b32_e32 v114, 3, v4
	v_lshl_add_u64 v[0:1], s[30:31], 3, v[0:1]
	s_mov_b32 s36, 0
	v_add_u32_e32 v115, -8, v114
	v_mov_b32_e32 v39, v2
	v_lshl_add_u64 v[44:45], s[40:41], 0, v[0:1]
	v_lshl_add_u64 v[46:47], s[42:43], 0, v[0:1]
	v_mov_b64_e32 v[40:41], 0x1000
	v_mov_b64_e32 v[42:43], 0xfff
	s_mov_b64 s[68:69], 0x8000
	s_branch .LBB34_14
.LBB34_13:                              ;   in Loop: Header=BB34_14 Depth=1
	s_add_u32 s34, s34, 0xfffff000
	s_addc_u32 s35, s35, -1
	s_add_i32 s33, s33, -1
	s_cmp_eq_u32 s33, 0
	v_lshl_add_u64 v[44:45], v[44:45], 0, s[68:69]
	v_lshl_add_u64 v[46:47], v[46:47], 0, s[68:69]
	s_cselect_b64 s[30:31], -1, 0
	s_waitcnt lgkmcnt(0)
	s_barrier
	s_andn2_b64 vcc, exec, s[30:31]
	s_cbranch_vccz .LBB34_100
.LBB34_14:                              ; =>This Inner Loop Header: Depth=1
	v_cmp_gt_i64_e32 vcc, s[34:35], v[42:43]
	s_mov_b64 s[38:39], -1
	v_cmp_gt_u32_e64 s[30:31], s34, v81
	s_cbranch_vccnz .LBB34_33
; %bb.15:                               ;   in Loop: Header=BB34_14 Depth=1
	s_mov_b32 s37, s36
	s_mov_b32 s38, s36
	;; [unrolled: 1-line block ×31, first 2 shown]
	s_waitcnt lgkmcnt(0)
	v_mov_b64_e32 v[4:5], s[36:37]
	v_lshl_add_u64 v[48:49], v[44:45], 0, v[38:39]
	v_mov_b64_e32 v[6:7], s[38:39]
	v_mov_b64_e32 v[8:9], s[40:41]
	;; [unrolled: 1-line block ×15, first 2 shown]
	s_and_saveexec_b64 s[38:39], s[30:31]
	s_cbranch_execnz .LBB34_85
; %bb.16:                               ;   in Loop: Header=BB34_14 Depth=1
	s_or_b64 exec, exec, s[38:39]
	v_cmp_gt_u32_e32 vcc, s34, v82
	s_and_saveexec_b64 s[30:31], vcc
	s_cbranch_execnz .LBB34_86
.LBB34_17:                              ;   in Loop: Header=BB34_14 Depth=1
	s_or_b64 exec, exec, s[30:31]
	v_cmp_gt_u32_e32 vcc, s34, v83
	s_and_saveexec_b64 s[30:31], vcc
	s_cbranch_execnz .LBB34_87
.LBB34_18:                              ;   in Loop: Header=BB34_14 Depth=1
	s_or_b64 exec, exec, s[30:31]
	v_cmp_gt_u32_e32 vcc, s34, v84
	s_and_saveexec_b64 s[30:31], vcc
	s_cbranch_execnz .LBB34_88
.LBB34_19:                              ;   in Loop: Header=BB34_14 Depth=1
	s_or_b64 exec, exec, s[30:31]
	v_cmp_gt_u32_e32 vcc, s34, v85
	s_and_saveexec_b64 s[30:31], vcc
	s_cbranch_execnz .LBB34_89
.LBB34_20:                              ;   in Loop: Header=BB34_14 Depth=1
	s_or_b64 exec, exec, s[30:31]
	v_cmp_gt_u32_e32 vcc, s34, v86
	s_and_saveexec_b64 s[30:31], vcc
	s_cbranch_execnz .LBB34_90
.LBB34_21:                              ;   in Loop: Header=BB34_14 Depth=1
	s_or_b64 exec, exec, s[30:31]
	v_cmp_gt_u32_e32 vcc, s34, v87
	s_and_saveexec_b64 s[30:31], vcc
	s_cbranch_execnz .LBB34_91
.LBB34_22:                              ;   in Loop: Header=BB34_14 Depth=1
	s_or_b64 exec, exec, s[30:31]
	v_cmp_gt_u32_e32 vcc, s34, v88
	s_and_saveexec_b64 s[30:31], vcc
	s_cbranch_execnz .LBB34_92
.LBB34_23:                              ;   in Loop: Header=BB34_14 Depth=1
	s_or_b64 exec, exec, s[30:31]
	v_cmp_gt_u32_e32 vcc, s34, v89
	s_and_saveexec_b64 s[30:31], vcc
	s_cbranch_execnz .LBB34_93
.LBB34_24:                              ;   in Loop: Header=BB34_14 Depth=1
	s_or_b64 exec, exec, s[30:31]
	v_cmp_gt_u32_e32 vcc, s34, v90
	s_and_saveexec_b64 s[30:31], vcc
	s_cbranch_execnz .LBB34_94
.LBB34_25:                              ;   in Loop: Header=BB34_14 Depth=1
	s_or_b64 exec, exec, s[30:31]
	v_cmp_gt_u32_e32 vcc, s34, v91
	s_and_saveexec_b64 s[30:31], vcc
	s_cbranch_execnz .LBB34_95
.LBB34_26:                              ;   in Loop: Header=BB34_14 Depth=1
	s_or_b64 exec, exec, s[30:31]
	v_cmp_gt_u32_e32 vcc, s34, v92
	s_and_saveexec_b64 s[30:31], vcc
	s_cbranch_execnz .LBB34_96
.LBB34_27:                              ;   in Loop: Header=BB34_14 Depth=1
	s_or_b64 exec, exec, s[30:31]
	v_cmp_gt_u32_e32 vcc, s34, v93
	s_and_saveexec_b64 s[30:31], vcc
	s_cbranch_execnz .LBB34_97
.LBB34_28:                              ;   in Loop: Header=BB34_14 Depth=1
	s_or_b64 exec, exec, s[30:31]
	v_cmp_gt_u32_e32 vcc, s34, v94
	s_and_saveexec_b64 s[30:31], vcc
	s_cbranch_execnz .LBB34_98
.LBB34_29:                              ;   in Loop: Header=BB34_14 Depth=1
	s_or_b64 exec, exec, s[30:31]
	v_cmp_gt_u32_e32 vcc, s34, v95
	s_and_saveexec_b64 s[30:31], vcc
	s_cbranch_execnz .LBB34_99
.LBB34_30:                              ;   in Loop: Header=BB34_14 Depth=1
	s_or_b64 exec, exec, s[30:31]
	v_cmp_gt_u32_e32 vcc, s34, v96
	s_and_saveexec_b64 s[30:31], vcc
	s_cbranch_execz .LBB34_32
.LBB34_31:                              ;   in Loop: Header=BB34_14 Depth=1
	v_add_co_u32_e32 v0, vcc, 0x1000, v48
	s_nop 1
	v_addc_co_u32_e32 v1, vcc, 0, v49, vcc
	global_load_dwordx2 v[34:35], v[0:1], off offset:3584
.LBB34_32:                              ;   in Loop: Header=BB34_14 Depth=1
	s_or_b64 exec, exec, s[30:31]
	s_mov_b64 s[38:39], 0
	ds_write_b64 v97, v[4:5]
	s_waitcnt vmcnt(0)
	ds_write_b64 v98, v[6:7]
	ds_write_b64 v99, v[8:9]
	;; [unrolled: 1-line block ×15, first 2 shown]
	; wave barrier
.LBB34_33:                              ;   in Loop: Header=BB34_14 Depth=1
	s_and_b64 vcc, exec, s[38:39]
	s_cbranch_vccz .LBB34_35
; %bb.34:                               ;   in Loop: Header=BB34_14 Depth=1
	v_lshl_add_u64 v[0:1], v[44:45], 0, v[38:39]
	global_load_dwordx2 v[4:5], v[0:1], off
	global_load_dwordx2 v[6:7], v[0:1], off offset:512
	global_load_dwordx2 v[8:9], v[0:1], off offset:1024
	;; [unrolled: 1-line block ×7, first 2 shown]
	v_add_co_u32_e32 v0, vcc, 0x1000, v0
	s_nop 1
	v_addc_co_u32_e32 v1, vcc, 0, v1, vcc
	s_waitcnt lgkmcnt(0)
	global_load_dwordx2 v[20:21], v[0:1], off
	global_load_dwordx2 v[22:23], v[0:1], off offset:512
	global_load_dwordx2 v[24:25], v[0:1], off offset:1024
	;; [unrolled: 1-line block ×6, first 2 shown]
	s_nop 0
	global_load_dwordx2 v[0:1], v[0:1], off offset:3584
	s_waitcnt vmcnt(15)
	ds_write_b64 v97, v[4:5]
	s_waitcnt vmcnt(14)
	ds_write_b64 v98, v[6:7]
	;; [unrolled: 2-line block ×16, first 2 shown]
	; wave barrier
.LBB34_35:                              ;   in Loop: Header=BB34_14 Depth=1
	ds_read2_b64 v[4:7], v113 offset1:1
	ds_read2_b64 v[8:11], v113 offset0:2 offset1:3
	ds_read2_b64 v[12:15], v113 offset0:4 offset1:5
	;; [unrolled: 1-line block ×3, first 2 shown]
	s_waitcnt lgkmcnt(4)
	ds_read2_b64 v[20:23], v113 offset0:8 offset1:9
	ds_read2_b64 v[24:27], v113 offset0:10 offset1:11
	;; [unrolled: 1-line block ×4, first 2 shown]
	s_waitcnt lgkmcnt(7)
	v_lshl_add_u64 v[0:1], v[6:7], 0, v[4:5]
	s_waitcnt lgkmcnt(6)
	v_lshl_add_u64 v[0:1], v[0:1], 0, v[8:9]
	v_lshl_add_u64 v[0:1], v[0:1], 0, v[10:11]
	s_waitcnt lgkmcnt(5)
	v_lshl_add_u64 v[0:1], v[0:1], 0, v[12:13]
	;; [unrolled: 3-line block ×7, first 2 shown]
	v_lshl_add_u64 v[0:1], v[0:1], 0, v[34:35]
	v_mov_b32_e32 v49, v2
	s_nop 0
	v_mov_b32_dpp v48, v0 row_shr:1 row_mask:0xf bank_mask:0xf
	v_mov_b32_dpp v3, v1 row_shr:1 row_mask:0xf bank_mask:0xf
	v_lshl_add_u64 v[48:49], v[0:1], 0, v[48:49]
	v_lshl_add_u64 v[50:51], v[48:49], 0, v[2:3]
	v_cndmask_b32_e64 v3, v48, v0, s[8:9]
	v_cndmask_b32_e64 v49, v51, v1, s[8:9]
	v_cndmask_b32_e64 v48, v50, v0, s[8:9]
	v_mov_b32_dpp v50, v3 row_shr:2 row_mask:0xf bank_mask:0xf
	v_mov_b32_dpp v51, v49 row_shr:2 row_mask:0xf bank_mask:0xf
	v_lshl_add_u64 v[50:51], v[50:51], 0, v[48:49]
	v_cndmask_b32_e64 v3, v3, v50, s[10:11]
	v_cndmask_b32_e64 v49, v49, v51, s[10:11]
	v_cndmask_b32_e64 v48, v48, v50, s[10:11]
	v_mov_b32_dpp v50, v3 row_shr:4 row_mask:0xf bank_mask:0xf
	v_mov_b32_dpp v51, v49 row_shr:4 row_mask:0xf bank_mask:0xf
	;; [unrolled: 6-line block ×3, first 2 shown]
	v_lshl_add_u64 v[50:51], v[50:51], 0, v[48:49]
	v_cndmask_b32_e64 v3, v3, v50, s[14:15]
	v_cndmask_b32_e64 v49, v49, v51, s[14:15]
	v_cndmask_b32_e64 v48, v48, v50, s[14:15]
	v_mov_b32_dpp v50, v3 row_bcast:15 row_mask:0xf bank_mask:0xf
	v_mov_b32_dpp v51, v49 row_bcast:15 row_mask:0xf bank_mask:0xf
	v_lshl_add_u64 v[50:51], v[50:51], 0, v[48:49]
	v_cndmask_b32_e64 v52, v51, v49, s[16:17]
	v_cndmask_b32_e64 v3, v50, v3, s[16:17]
	s_barrier
	v_mov_b32_dpp v52, v52 row_bcast:31 row_mask:0xf bank_mask:0xf
	v_mov_b32_dpp v3, v3 row_bcast:31 row_mask:0xf bank_mask:0xf
	s_and_saveexec_b64 s[30:31], s[0:1]
; %bb.36:                               ;   in Loop: Header=BB34_14 Depth=1
	v_cndmask_b32_e64 v1, v51, v49, s[16:17]
	v_cndmask_b32_e64 v0, v50, v48, s[16:17]
	;; [unrolled: 1-line block ×4, first 2 shown]
	v_lshl_add_u64 v[0:1], v[0:1], 0, v[48:49]
; %bb.37:                               ;   in Loop: Header=BB34_14 Depth=1
	s_or_b64 exec, exec, s[30:31]
	s_and_saveexec_b64 s[30:31], s[20:21]
	s_cbranch_execz .LBB34_39
; %bb.38:                               ;   in Loop: Header=BB34_14 Depth=1
	ds_write_b64 v114, v[0:1]
.LBB34_39:                              ;   in Loop: Header=BB34_14 Depth=1
	s_or_b64 exec, exec, s[30:31]
	s_waitcnt lgkmcnt(0)
	s_barrier
	s_and_saveexec_b64 s[30:31], s[22:23]
	s_cbranch_execz .LBB34_41
; %bb.40:                               ;   in Loop: Header=BB34_14 Depth=1
	ds_read_b64 v[48:49], v80
	v_mov_b32_e32 v51, v2
	s_waitcnt lgkmcnt(0)
	v_mov_b32_dpp v50, v48 row_shr:1 row_mask:0xf bank_mask:0xf
	v_mov_b32_dpp v3, v49 row_shr:1 row_mask:0xf bank_mask:0xf
	v_lshl_add_u64 v[50:51], v[48:49], 0, v[50:51]
	v_lshl_add_u64 v[52:53], v[2:3], 0, v[50:51]
	v_cndmask_b32_e64 v3, v50, v48, s[24:25]
	v_cndmask_b32_e64 v49, v53, v49, s[24:25]
	v_cndmask_b32_e64 v48, v52, v48, s[24:25]
	v_mov_b32_dpp v3, v3 row_shr:2 row_mask:0xf bank_mask:0xf
	v_mov_b32_dpp v50, v49 row_shr:2 row_mask:0xf bank_mask:0xf
	v_cndmask_b32_e64 v51, 0, v50, s[26:27]
	v_cndmask_b32_e64 v50, 0, v3, s[26:27]
	v_lshl_add_u64 v[48:49], v[50:51], 0, v[48:49]
	ds_write_b64 v80, v[48:49]
.LBB34_41:                              ;   in Loop: Header=BB34_14 Depth=1
	s_or_b64 exec, exec, s[30:31]
	s_waitcnt lgkmcnt(0)
	s_barrier
	s_waitcnt lgkmcnt(0)
                                        ; implicit-def: $vgpr48_vgpr49
	s_and_saveexec_b64 s[30:31], s[4:5]
	s_cbranch_execz .LBB34_43
; %bb.42:                               ;   in Loop: Header=BB34_14 Depth=1
	ds_read_b64 v[48:49], v115
	s_waitcnt lgkmcnt(0)
	v_lshl_add_u64 v[0:1], v[48:49], 0, v[0:1]
.LBB34_43:                              ;   in Loop: Header=BB34_14 Depth=1
	s_or_b64 exec, exec, s[30:31]
	ds_bpermute_b32 v50, v116, v0
	ds_bpermute_b32 v3, v116, v1
	s_and_saveexec_b64 s[30:31], s[6:7]
	s_cbranch_execz .LBB34_47
; %bb.44:                               ;   in Loop: Header=BB34_14 Depth=1
	ds_read_b64 v[0:1], v2 offset:24
	s_and_saveexec_b64 s[38:39], s[28:29]
	s_cbranch_execz .LBB34_46
; %bb.45:                               ;   in Loop: Header=BB34_14 Depth=1
	ds_write_b64 v2, v[36:37] offset:24
.LBB34_46:                              ;   in Loop: Header=BB34_14 Depth=1
	s_or_b64 exec, exec, s[38:39]
	s_waitcnt lgkmcnt(0)
	v_lshl_add_u64 v[36:37], v[0:1], 0, v[36:37]
.LBB34_47:                              ;   in Loop: Header=BB34_14 Depth=1
	s_or_b64 exec, exec, s[30:31]
	s_waitcnt lgkmcnt(0)
	s_barrier
	ds_read_b64 v[0:1], v2 offset:24
	v_cndmask_b32_e64 v48, v50, v48, s[2:3]
	v_cndmask_b32_e64 v3, v3, v49, s[2:3]
	v_cndmask_b32_e64 v49, v3, 0, s[28:29]
	v_cndmask_b32_e64 v48, v48, 0, s[28:29]
	v_lshl_add_u64 v[4:5], v[48:49], 0, v[4:5]
	s_waitcnt lgkmcnt(0)
	v_lshl_add_u64 v[60:61], v[4:5], 0, v[0:1]
	v_lshl_add_u64 v[62:63], v[60:61], 0, v[6:7]
	;; [unrolled: 1-line block ×14, first 2 shown]
	v_cmp_lt_i64_e32 vcc, s[34:35], v[40:41]
	v_lshl_add_u64 v[4:5], v[10:11], 0, v[32:33]
	v_lshl_add_u64 v[6:7], v[4:5], 0, v[34:35]
	;; [unrolled: 1-line block ×3, first 2 shown]
	s_barrier
	s_cbranch_vccz .LBB34_70
; %bb.48:                               ;   in Loop: Header=BB34_14 Depth=1
	ds_write2_b64 v113, v[60:61], v[62:63] offset1:1
	ds_write2_b64 v113, v[56:57], v[58:59] offset0:2 offset1:3
	ds_write2_b64 v113, v[52:53], v[54:55] offset0:4 offset1:5
	;; [unrolled: 1-line block ×7, first 2 shown]
	; wave barrier
	ds_read_b64 v[78:79], v97
	ds_read_b64 v[76:77], v98
	ds_read_b64 v[74:75], v99
	ds_read_b64 v[72:73], v100
	ds_read_b64 v[70:71], v101
	ds_read_b64 v[68:69], v102
	ds_read_b64 v[66:67], v103
	ds_read_b64 v[64:65], v104
	ds_read_b64 v[34:35], v105
	ds_read_b64 v[32:33], v106
	ds_read_b64 v[30:31], v107
	ds_read_b64 v[28:29], v108
	ds_read_b64 v[26:27], v109
	ds_read_b64 v[24:25], v110
	ds_read_b64 v[22:23], v111
	ds_read_b64 v[20:21], v112
	v_cmp_gt_u32_e32 vcc, s34, v81
	s_and_saveexec_b64 s[30:31], vcc
	s_cbranch_execnz .LBB34_71
; %bb.49:                               ;   in Loop: Header=BB34_14 Depth=1
	s_or_b64 exec, exec, s[30:31]
	v_cmp_gt_u32_e32 vcc, s34, v82
	s_and_saveexec_b64 s[30:31], vcc
	s_cbranch_execnz .LBB34_72
.LBB34_50:                              ;   in Loop: Header=BB34_14 Depth=1
	s_or_b64 exec, exec, s[30:31]
	v_cmp_gt_u32_e32 vcc, s34, v83
	s_and_saveexec_b64 s[30:31], vcc
	s_cbranch_execnz .LBB34_73
.LBB34_51:                              ;   in Loop: Header=BB34_14 Depth=1
	s_or_b64 exec, exec, s[30:31]
	v_cmp_gt_u32_e32 vcc, s34, v84
	s_and_saveexec_b64 s[30:31], vcc
	s_cbranch_execnz .LBB34_74
.LBB34_52:                              ;   in Loop: Header=BB34_14 Depth=1
	s_or_b64 exec, exec, s[30:31]
	v_cmp_gt_u32_e32 vcc, s34, v85
	s_and_saveexec_b64 s[30:31], vcc
	s_cbranch_execnz .LBB34_75
.LBB34_53:                              ;   in Loop: Header=BB34_14 Depth=1
	s_or_b64 exec, exec, s[30:31]
	v_cmp_gt_u32_e32 vcc, s34, v86
	s_and_saveexec_b64 s[30:31], vcc
	s_cbranch_execnz .LBB34_76
.LBB34_54:                              ;   in Loop: Header=BB34_14 Depth=1
	s_or_b64 exec, exec, s[30:31]
	v_cmp_gt_u32_e32 vcc, s34, v87
	s_and_saveexec_b64 s[30:31], vcc
	s_cbranch_execnz .LBB34_77
.LBB34_55:                              ;   in Loop: Header=BB34_14 Depth=1
	s_or_b64 exec, exec, s[30:31]
	v_cmp_gt_u32_e32 vcc, s34, v88
	s_and_saveexec_b64 s[30:31], vcc
	s_cbranch_execnz .LBB34_78
.LBB34_56:                              ;   in Loop: Header=BB34_14 Depth=1
	s_or_b64 exec, exec, s[30:31]
	v_cmp_gt_u32_e32 vcc, s34, v89
	s_and_saveexec_b64 s[30:31], vcc
	s_cbranch_execnz .LBB34_79
.LBB34_57:                              ;   in Loop: Header=BB34_14 Depth=1
	s_or_b64 exec, exec, s[30:31]
	v_cmp_gt_u32_e32 vcc, s34, v90
	s_and_saveexec_b64 s[30:31], vcc
	s_cbranch_execnz .LBB34_80
.LBB34_58:                              ;   in Loop: Header=BB34_14 Depth=1
	s_or_b64 exec, exec, s[30:31]
	v_cmp_gt_u32_e32 vcc, s34, v91
	s_and_saveexec_b64 s[30:31], vcc
	s_cbranch_execnz .LBB34_81
.LBB34_59:                              ;   in Loop: Header=BB34_14 Depth=1
	s_or_b64 exec, exec, s[30:31]
	v_cmp_gt_u32_e32 vcc, s34, v92
	s_and_saveexec_b64 s[30:31], vcc
	s_cbranch_execnz .LBB34_82
.LBB34_60:                              ;   in Loop: Header=BB34_14 Depth=1
	s_or_b64 exec, exec, s[30:31]
	v_cmp_gt_u32_e32 vcc, s34, v93
	s_and_saveexec_b64 s[30:31], vcc
	s_cbranch_execnz .LBB34_83
.LBB34_61:                              ;   in Loop: Header=BB34_14 Depth=1
	s_or_b64 exec, exec, s[30:31]
	v_cmp_gt_u32_e32 vcc, s34, v94
	s_and_saveexec_b64 s[30:31], vcc
	s_cbranch_execnz .LBB34_84
.LBB34_62:                              ;   in Loop: Header=BB34_14 Depth=1
	s_or_b64 exec, exec, s[30:31]
	v_cmp_gt_u32_e32 vcc, s34, v95
	s_and_saveexec_b64 s[30:31], vcc
	s_cbranch_execz .LBB34_64
.LBB34_63:                              ;   in Loop: Header=BB34_14 Depth=1
	s_waitcnt lgkmcnt(2)
	v_add_co_u32_e32 v24, vcc, 0x1000, v0
	s_nop 1
	v_addc_co_u32_e32 v25, vcc, 0, v1, vcc
	s_waitcnt lgkmcnt(1)
	global_store_dwordx2 v[24:25], v[22:23], off offset:3072
.LBB34_64:                              ;   in Loop: Header=BB34_14 Depth=1
	s_or_b64 exec, exec, s[30:31]
	v_cmp_gt_u32_e64 s[30:31], s34, v96
	s_branch .LBB34_66
.LBB34_65:                              ;   in Loop: Header=BB34_14 Depth=1
	ds_write2_b64 v113, v[60:61], v[62:63] offset1:1
	ds_write2_b64 v113, v[56:57], v[58:59] offset0:2 offset1:3
	ds_write2_b64 v113, v[52:53], v[54:55] offset0:4 offset1:5
	;; [unrolled: 1-line block ×7, first 2 shown]
	; wave barrier
	ds_read_b64 v[4:5], v97
	ds_read_b64 v[6:7], v98
	;; [unrolled: 1-line block ×8, first 2 shown]
	s_waitcnt lgkmcnt(14)
	ds_read_b64 v[22:23], v105
	ds_read_b64 v[24:25], v106
	;; [unrolled: 1-line block ×8, first 2 shown]
	s_waitcnt lgkmcnt(14)
	global_store_dwordx2 v[0:1], v[4:5], off
	global_store_dwordx2 v[0:1], v[6:7], off offset:512
	s_waitcnt lgkmcnt(13)
	global_store_dwordx2 v[0:1], v[8:9], off offset:1024
	s_waitcnt lgkmcnt(12)
	global_store_dwordx2 v[0:1], v[10:11], off offset:1536
	s_waitcnt lgkmcnt(11)
	global_store_dwordx2 v[0:1], v[12:13], off offset:2048
	s_waitcnt lgkmcnt(10)
	global_store_dwordx2 v[0:1], v[14:15], off offset:2560
	s_waitcnt lgkmcnt(9)
	global_store_dwordx2 v[0:1], v[16:17], off offset:3072
	s_waitcnt lgkmcnt(8)
	global_store_dwordx2 v[0:1], v[18:19], off offset:3584
	v_add_co_u32_e32 v4, vcc, 0x1000, v0
	s_or_b64 s[30:31], s[30:31], exec
	s_nop 0
	v_addc_co_u32_e32 v5, vcc, 0, v1, vcc
	s_waitcnt lgkmcnt(7)
	global_store_dwordx2 v[4:5], v[22:23], off
	s_waitcnt lgkmcnt(6)
	global_store_dwordx2 v[4:5], v[24:25], off offset:512
	s_waitcnt lgkmcnt(5)
	global_store_dwordx2 v[4:5], v[26:27], off offset:1024
	;; [unrolled: 2-line block ×6, first 2 shown]
.LBB34_66:                              ;   in Loop: Header=BB34_14 Depth=1
	s_and_saveexec_b64 s[38:39], s[30:31]
	s_cbranch_execz .LBB34_68
; %bb.67:                               ;   in Loop: Header=BB34_14 Depth=1
	v_add_co_u32_e32 v0, vcc, 0x1000, v0
	s_nop 1
	v_addc_co_u32_e32 v1, vcc, 0, v1, vcc
	s_waitcnt lgkmcnt(0)
	global_store_dwordx2 v[0:1], v[20:21], off offset:3584
.LBB34_68:                              ;   in Loop: Header=BB34_14 Depth=1
	s_or_b64 exec, exec, s[38:39]
	v_mov_b64_e32 v[0:1], 0x1001
	v_cmp_lt_i64_e32 vcc, s[34:35], v[0:1]
	s_cbranch_vccz .LBB34_13
; %bb.69:
                                        ; implicit-def: $vgpr36_vgpr37
                                        ; implicit-def: $sgpr34_sgpr35
                                        ; implicit-def: $sgpr33
                                        ; implicit-def: $vgpr44_vgpr45
                                        ; implicit-def: $vgpr46_vgpr47
	s_branch .LBB34_100
.LBB34_70:                              ;   in Loop: Header=BB34_14 Depth=1
	s_mov_b64 s[30:31], 0
                                        ; implicit-def: $vgpr20_vgpr21
	s_cbranch_execnz .LBB34_65
	s_branch .LBB34_66
.LBB34_71:                              ;   in Loop: Header=BB34_14 Depth=1
	s_waitcnt lgkmcnt(14)
	global_store_dwordx2 v[0:1], v[78:79], off
	s_or_b64 exec, exec, s[30:31]
	v_cmp_gt_u32_e32 vcc, s34, v82
	s_and_saveexec_b64 s[30:31], vcc
	s_cbranch_execz .LBB34_50
.LBB34_72:                              ;   in Loop: Header=BB34_14 Depth=1
	s_waitcnt lgkmcnt(14)
	global_store_dwordx2 v[0:1], v[76:77], off offset:512
	s_or_b64 exec, exec, s[30:31]
	v_cmp_gt_u32_e32 vcc, s34, v83
	s_and_saveexec_b64 s[30:31], vcc
	s_cbranch_execz .LBB34_51
.LBB34_73:                              ;   in Loop: Header=BB34_14 Depth=1
	s_waitcnt lgkmcnt(13)
	global_store_dwordx2 v[0:1], v[74:75], off offset:1024
	s_or_b64 exec, exec, s[30:31]
	v_cmp_gt_u32_e32 vcc, s34, v84
	s_and_saveexec_b64 s[30:31], vcc
	s_cbranch_execz .LBB34_52
.LBB34_74:                              ;   in Loop: Header=BB34_14 Depth=1
	s_waitcnt lgkmcnt(12)
	global_store_dwordx2 v[0:1], v[72:73], off offset:1536
	s_or_b64 exec, exec, s[30:31]
	v_cmp_gt_u32_e32 vcc, s34, v85
	s_and_saveexec_b64 s[30:31], vcc
	s_cbranch_execz .LBB34_53
.LBB34_75:                              ;   in Loop: Header=BB34_14 Depth=1
	s_waitcnt lgkmcnt(11)
	global_store_dwordx2 v[0:1], v[70:71], off offset:2048
	s_or_b64 exec, exec, s[30:31]
	v_cmp_gt_u32_e32 vcc, s34, v86
	s_and_saveexec_b64 s[30:31], vcc
	s_cbranch_execz .LBB34_54
.LBB34_76:                              ;   in Loop: Header=BB34_14 Depth=1
	s_waitcnt lgkmcnt(10)
	global_store_dwordx2 v[0:1], v[68:69], off offset:2560
	s_or_b64 exec, exec, s[30:31]
	v_cmp_gt_u32_e32 vcc, s34, v87
	s_and_saveexec_b64 s[30:31], vcc
	s_cbranch_execz .LBB34_55
.LBB34_77:                              ;   in Loop: Header=BB34_14 Depth=1
	s_waitcnt lgkmcnt(9)
	global_store_dwordx2 v[0:1], v[66:67], off offset:3072
	s_or_b64 exec, exec, s[30:31]
	v_cmp_gt_u32_e32 vcc, s34, v88
	s_and_saveexec_b64 s[30:31], vcc
	s_cbranch_execz .LBB34_56
.LBB34_78:                              ;   in Loop: Header=BB34_14 Depth=1
	s_waitcnt lgkmcnt(8)
	global_store_dwordx2 v[0:1], v[64:65], off offset:3584
	s_or_b64 exec, exec, s[30:31]
	v_cmp_gt_u32_e32 vcc, s34, v89
	s_and_saveexec_b64 s[30:31], vcc
	s_cbranch_execz .LBB34_57
.LBB34_79:                              ;   in Loop: Header=BB34_14 Depth=1
	s_waitcnt lgkmcnt(8)
	v_add_co_u32_e32 v64, vcc, 0x1000, v0
	s_nop 1
	v_addc_co_u32_e32 v65, vcc, 0, v1, vcc
	s_waitcnt lgkmcnt(7)
	global_store_dwordx2 v[64:65], v[34:35], off
	s_or_b64 exec, exec, s[30:31]
	v_cmp_gt_u32_e32 vcc, s34, v90
	s_and_saveexec_b64 s[30:31], vcc
	s_cbranch_execz .LBB34_58
.LBB34_80:                              ;   in Loop: Header=BB34_14 Depth=1
	s_waitcnt lgkmcnt(7)
	v_add_co_u32_e32 v34, vcc, 0x1000, v0
	s_nop 1
	v_addc_co_u32_e32 v35, vcc, 0, v1, vcc
	s_waitcnt lgkmcnt(6)
	global_store_dwordx2 v[34:35], v[32:33], off offset:512
	s_or_b64 exec, exec, s[30:31]
	v_cmp_gt_u32_e32 vcc, s34, v91
	s_and_saveexec_b64 s[30:31], vcc
	s_cbranch_execz .LBB34_59
.LBB34_81:                              ;   in Loop: Header=BB34_14 Depth=1
	s_waitcnt lgkmcnt(6)
	v_add_co_u32_e32 v32, vcc, 0x1000, v0
	s_nop 1
	v_addc_co_u32_e32 v33, vcc, 0, v1, vcc
	s_waitcnt lgkmcnt(5)
	global_store_dwordx2 v[32:33], v[30:31], off offset:1024
	s_or_b64 exec, exec, s[30:31]
	v_cmp_gt_u32_e32 vcc, s34, v92
	s_and_saveexec_b64 s[30:31], vcc
	s_cbranch_execz .LBB34_60
.LBB34_82:                              ;   in Loop: Header=BB34_14 Depth=1
	s_waitcnt lgkmcnt(5)
	v_add_co_u32_e32 v30, vcc, 0x1000, v0
	s_nop 1
	v_addc_co_u32_e32 v31, vcc, 0, v1, vcc
	s_waitcnt lgkmcnt(4)
	global_store_dwordx2 v[30:31], v[28:29], off offset:1536
	s_or_b64 exec, exec, s[30:31]
	v_cmp_gt_u32_e32 vcc, s34, v93
	s_and_saveexec_b64 s[30:31], vcc
	s_cbranch_execz .LBB34_61
.LBB34_83:                              ;   in Loop: Header=BB34_14 Depth=1
	s_waitcnt lgkmcnt(4)
	v_add_co_u32_e32 v28, vcc, 0x1000, v0
	s_nop 1
	v_addc_co_u32_e32 v29, vcc, 0, v1, vcc
	s_waitcnt lgkmcnt(3)
	global_store_dwordx2 v[28:29], v[26:27], off offset:2048
	s_or_b64 exec, exec, s[30:31]
	v_cmp_gt_u32_e32 vcc, s34, v94
	s_and_saveexec_b64 s[30:31], vcc
	s_cbranch_execz .LBB34_62
.LBB34_84:                              ;   in Loop: Header=BB34_14 Depth=1
	s_waitcnt lgkmcnt(3)
	v_add_co_u32_e32 v26, vcc, 0x1000, v0
	s_nop 1
	v_addc_co_u32_e32 v27, vcc, 0, v1, vcc
	s_waitcnt lgkmcnt(2)
	global_store_dwordx2 v[26:27], v[24:25], off offset:2560
	s_or_b64 exec, exec, s[30:31]
	v_cmp_gt_u32_e32 vcc, s34, v95
	s_and_saveexec_b64 s[30:31], vcc
	s_cbranch_execnz .LBB34_63
	s_branch .LBB34_64
.LBB34_85:                              ;   in Loop: Header=BB34_14 Depth=1
	global_load_dwordx2 v[0:1], v[48:49], off
	v_mov_b32_e32 v4, v2
	v_mov_b32_e32 v5, v2
	;; [unrolled: 1-line block ×29, first 2 shown]
	s_waitcnt vmcnt(0)
	v_mov_b64_e32 v[34:35], v[30:31]
	v_mov_b64_e32 v[32:33], v[28:29]
	;; [unrolled: 1-line block ×16, first 2 shown]
	s_or_b64 exec, exec, s[38:39]
	v_cmp_gt_u32_e32 vcc, s34, v82
	s_and_saveexec_b64 s[30:31], vcc
	s_cbranch_execz .LBB34_17
.LBB34_86:                              ;   in Loop: Header=BB34_14 Depth=1
	global_load_dwordx2 v[6:7], v[48:49], off offset:512
	s_or_b64 exec, exec, s[30:31]
	v_cmp_gt_u32_e32 vcc, s34, v83
	s_and_saveexec_b64 s[30:31], vcc
	s_cbranch_execz .LBB34_18
.LBB34_87:                              ;   in Loop: Header=BB34_14 Depth=1
	global_load_dwordx2 v[8:9], v[48:49], off offset:1024
	s_or_b64 exec, exec, s[30:31]
	v_cmp_gt_u32_e32 vcc, s34, v84
	s_and_saveexec_b64 s[30:31], vcc
	s_cbranch_execz .LBB34_19
.LBB34_88:                              ;   in Loop: Header=BB34_14 Depth=1
	global_load_dwordx2 v[10:11], v[48:49], off offset:1536
	s_or_b64 exec, exec, s[30:31]
	v_cmp_gt_u32_e32 vcc, s34, v85
	s_and_saveexec_b64 s[30:31], vcc
	s_cbranch_execz .LBB34_20
.LBB34_89:                              ;   in Loop: Header=BB34_14 Depth=1
	global_load_dwordx2 v[12:13], v[48:49], off offset:2048
	s_or_b64 exec, exec, s[30:31]
	v_cmp_gt_u32_e32 vcc, s34, v86
	s_and_saveexec_b64 s[30:31], vcc
	s_cbranch_execz .LBB34_21
.LBB34_90:                              ;   in Loop: Header=BB34_14 Depth=1
	global_load_dwordx2 v[14:15], v[48:49], off offset:2560
	s_or_b64 exec, exec, s[30:31]
	v_cmp_gt_u32_e32 vcc, s34, v87
	s_and_saveexec_b64 s[30:31], vcc
	s_cbranch_execz .LBB34_22
.LBB34_91:                              ;   in Loop: Header=BB34_14 Depth=1
	global_load_dwordx2 v[16:17], v[48:49], off offset:3072
	s_or_b64 exec, exec, s[30:31]
	v_cmp_gt_u32_e32 vcc, s34, v88
	s_and_saveexec_b64 s[30:31], vcc
	s_cbranch_execz .LBB34_23
.LBB34_92:                              ;   in Loop: Header=BB34_14 Depth=1
	global_load_dwordx2 v[18:19], v[48:49], off offset:3584
	s_or_b64 exec, exec, s[30:31]
	v_cmp_gt_u32_e32 vcc, s34, v89
	s_and_saveexec_b64 s[30:31], vcc
	s_cbranch_execz .LBB34_24
.LBB34_93:                              ;   in Loop: Header=BB34_14 Depth=1
	v_add_co_u32_e32 v0, vcc, 0x1000, v48
	s_nop 1
	v_addc_co_u32_e32 v1, vcc, 0, v49, vcc
	global_load_dwordx2 v[20:21], v[0:1], off
	s_or_b64 exec, exec, s[30:31]
	v_cmp_gt_u32_e32 vcc, s34, v90
	s_and_saveexec_b64 s[30:31], vcc
	s_cbranch_execz .LBB34_25
.LBB34_94:                              ;   in Loop: Header=BB34_14 Depth=1
	v_add_co_u32_e32 v0, vcc, 0x1000, v48
	s_nop 1
	v_addc_co_u32_e32 v1, vcc, 0, v49, vcc
	global_load_dwordx2 v[22:23], v[0:1], off offset:512
	s_or_b64 exec, exec, s[30:31]
	v_cmp_gt_u32_e32 vcc, s34, v91
	s_and_saveexec_b64 s[30:31], vcc
	s_cbranch_execz .LBB34_26
.LBB34_95:                              ;   in Loop: Header=BB34_14 Depth=1
	v_add_co_u32_e32 v0, vcc, 0x1000, v48
	s_nop 1
	v_addc_co_u32_e32 v1, vcc, 0, v49, vcc
	global_load_dwordx2 v[24:25], v[0:1], off offset:1024
	s_or_b64 exec, exec, s[30:31]
	v_cmp_gt_u32_e32 vcc, s34, v92
	s_and_saveexec_b64 s[30:31], vcc
	s_cbranch_execz .LBB34_27
.LBB34_96:                              ;   in Loop: Header=BB34_14 Depth=1
	v_add_co_u32_e32 v0, vcc, 0x1000, v48
	s_nop 1
	v_addc_co_u32_e32 v1, vcc, 0, v49, vcc
	global_load_dwordx2 v[26:27], v[0:1], off offset:1536
	s_or_b64 exec, exec, s[30:31]
	v_cmp_gt_u32_e32 vcc, s34, v93
	s_and_saveexec_b64 s[30:31], vcc
	s_cbranch_execz .LBB34_28
.LBB34_97:                              ;   in Loop: Header=BB34_14 Depth=1
	v_add_co_u32_e32 v0, vcc, 0x1000, v48
	s_nop 1
	v_addc_co_u32_e32 v1, vcc, 0, v49, vcc
	global_load_dwordx2 v[28:29], v[0:1], off offset:2048
	s_or_b64 exec, exec, s[30:31]
	v_cmp_gt_u32_e32 vcc, s34, v94
	s_and_saveexec_b64 s[30:31], vcc
	s_cbranch_execz .LBB34_29
.LBB34_98:                              ;   in Loop: Header=BB34_14 Depth=1
	v_add_co_u32_e32 v0, vcc, 0x1000, v48
	s_nop 1
	v_addc_co_u32_e32 v1, vcc, 0, v49, vcc
	global_load_dwordx2 v[30:31], v[0:1], off offset:2560
	s_or_b64 exec, exec, s[30:31]
	v_cmp_gt_u32_e32 vcc, s34, v95
	s_and_saveexec_b64 s[30:31], vcc
	s_cbranch_execz .LBB34_30
.LBB34_99:                              ;   in Loop: Header=BB34_14 Depth=1
	v_add_co_u32_e32 v0, vcc, 0x1000, v48
	s_nop 1
	v_addc_co_u32_e32 v1, vcc, 0, v49, vcc
	global_load_dwordx2 v[32:33], v[0:1], off offset:3072
	s_or_b64 exec, exec, s[30:31]
	v_cmp_gt_u32_e32 vcc, s34, v96
	s_and_saveexec_b64 s[30:31], vcc
	s_cbranch_execnz .LBB34_31
	s_branch .LBB34_32
.LBB34_100:
	s_endpgm
	.section	.rodata,"a",@progbits
	.p2align	6, 0x0
	.amdhsa_kernel _ZN2at4cuda3cub17final_scan_kernelILi256ELi16ElEEvPKT1_PS3_S6_li
		.amdhsa_group_segment_fixed_size 33792
		.amdhsa_private_segment_fixed_size 0
		.amdhsa_kernarg_size 296
		.amdhsa_user_sgpr_count 2
		.amdhsa_user_sgpr_dispatch_ptr 0
		.amdhsa_user_sgpr_queue_ptr 0
		.amdhsa_user_sgpr_kernarg_segment_ptr 1
		.amdhsa_user_sgpr_dispatch_id 0
		.amdhsa_user_sgpr_kernarg_preload_length 0
		.amdhsa_user_sgpr_kernarg_preload_offset 0
		.amdhsa_user_sgpr_private_segment_size 0
		.amdhsa_uses_dynamic_stack 0
		.amdhsa_enable_private_segment 0
		.amdhsa_system_sgpr_workgroup_id_x 1
		.amdhsa_system_sgpr_workgroup_id_y 0
		.amdhsa_system_sgpr_workgroup_id_z 0
		.amdhsa_system_sgpr_workgroup_info 0
		.amdhsa_system_vgpr_workitem_id 0
		.amdhsa_next_free_vgpr 117
		.amdhsa_next_free_sgpr 70
		.amdhsa_accum_offset 120
		.amdhsa_reserve_vcc 1
		.amdhsa_float_round_mode_32 0
		.amdhsa_float_round_mode_16_64 0
		.amdhsa_float_denorm_mode_32 3
		.amdhsa_float_denorm_mode_16_64 3
		.amdhsa_dx10_clamp 1
		.amdhsa_ieee_mode 1
		.amdhsa_fp16_overflow 0
		.amdhsa_tg_split 0
		.amdhsa_exception_fp_ieee_invalid_op 0
		.amdhsa_exception_fp_denorm_src 0
		.amdhsa_exception_fp_ieee_div_zero 0
		.amdhsa_exception_fp_ieee_overflow 0
		.amdhsa_exception_fp_ieee_underflow 0
		.amdhsa_exception_fp_ieee_inexact 0
		.amdhsa_exception_int_div_zero 0
	.end_amdhsa_kernel
	.section	.text._ZN2at4cuda3cub17final_scan_kernelILi256ELi16ElEEvPKT1_PS3_S6_li,"axG",@progbits,_ZN2at4cuda3cub17final_scan_kernelILi256ELi16ElEEvPKT1_PS3_S6_li,comdat
.Lfunc_end34:
	.size	_ZN2at4cuda3cub17final_scan_kernelILi256ELi16ElEEvPKT1_PS3_S6_li, .Lfunc_end34-_ZN2at4cuda3cub17final_scan_kernelILi256ELi16ElEEvPKT1_PS3_S6_li
                                        ; -- End function
	.section	.AMDGPU.csdata,"",@progbits
; Kernel info:
; codeLenInByte = 5468
; NumSgprs: 76
; NumVgprs: 117
; NumAgprs: 0
; TotalNumVgprs: 117
; ScratchSize: 0
; MemoryBound: 1
; FloatMode: 240
; IeeeMode: 1
; LDSByteSize: 33792 bytes/workgroup (compile time only)
; SGPRBlocks: 9
; VGPRBlocks: 14
; NumSGPRsForWavesPerEU: 76
; NumVGPRsForWavesPerEU: 117
; AccumOffset: 120
; Occupancy: 4
; WaveLimiterHint : 1
; COMPUTE_PGM_RSRC2:SCRATCH_EN: 0
; COMPUTE_PGM_RSRC2:USER_SGPR: 2
; COMPUTE_PGM_RSRC2:TRAP_HANDLER: 0
; COMPUTE_PGM_RSRC2:TGID_X_EN: 1
; COMPUTE_PGM_RSRC2:TGID_Y_EN: 0
; COMPUTE_PGM_RSRC2:TGID_Z_EN: 0
; COMPUTE_PGM_RSRC2:TIDIG_COMP_CNT: 0
; COMPUTE_PGM_RSRC3_GFX90A:ACCUM_OFFSET: 29
; COMPUTE_PGM_RSRC3_GFX90A:TG_SPLIT: 0
	.section	.text._ZN7rocprim17ROCPRIM_304000_NS6detail31init_lookback_scan_state_kernelINS1_19lookback_scan_stateIlLb1ELb1EEEEEvT_jjPNS5_10value_typeE,"axG",@progbits,_ZN7rocprim17ROCPRIM_304000_NS6detail31init_lookback_scan_state_kernelINS1_19lookback_scan_stateIlLb1ELb1EEEEEvT_jjPNS5_10value_typeE,comdat
	.protected	_ZN7rocprim17ROCPRIM_304000_NS6detail31init_lookback_scan_state_kernelINS1_19lookback_scan_stateIlLb1ELb1EEEEEvT_jjPNS5_10value_typeE ; -- Begin function _ZN7rocprim17ROCPRIM_304000_NS6detail31init_lookback_scan_state_kernelINS1_19lookback_scan_stateIlLb1ELb1EEEEEvT_jjPNS5_10value_typeE
	.globl	_ZN7rocprim17ROCPRIM_304000_NS6detail31init_lookback_scan_state_kernelINS1_19lookback_scan_stateIlLb1ELb1EEEEEvT_jjPNS5_10value_typeE
	.p2align	8
	.type	_ZN7rocprim17ROCPRIM_304000_NS6detail31init_lookback_scan_state_kernelINS1_19lookback_scan_stateIlLb1ELb1EEEEEvT_jjPNS5_10value_typeE,@function
_ZN7rocprim17ROCPRIM_304000_NS6detail31init_lookback_scan_state_kernelINS1_19lookback_scan_stateIlLb1ELb1EEEEEvT_jjPNS5_10value_typeE: ; @_ZN7rocprim17ROCPRIM_304000_NS6detail31init_lookback_scan_state_kernelINS1_19lookback_scan_stateIlLb1ELb1EEEEEvT_jjPNS5_10value_typeE
; %bb.0:
	s_load_dword s3, s[0:1], 0x24
	s_load_dwordx2 s[8:9], s[0:1], 0x10
	s_load_dwordx4 s[4:7], s[0:1], 0x0
	s_waitcnt lgkmcnt(0)
	s_and_b32 s0, s3, 0xffff
	s_mul_i32 s2, s2, s0
	s_cmp_eq_u64 s[8:9], 0
	v_add_u32_e32 v0, s2, v0
	s_cbranch_scc1 .LBB35_10
; %bb.1:
	s_cmp_lt_u32 s7, s6
	s_cselect_b32 s0, s7, 0
	s_mov_b32 s3, 0
	v_cmp_eq_u32_e32 vcc, s0, v0
	s_and_saveexec_b64 s[0:1], vcc
	s_cbranch_execz .LBB35_9
; %bb.2:
	s_add_i32 s2, s7, 64
	s_lshl_b64 s[2:3], s[2:3], 4
	s_add_u32 s12, s4, s2
	s_addc_u32 s13, s5, s3
	v_mov_b64_e32 v[2:3], s[12:13]
	;;#ASMSTART
	global_load_dwordx4 v[2:5], v[2:3] off sc1	
s_waitcnt vmcnt(0)
	;;#ASMEND
	v_mov_b32_e32 v7, 0
	v_and_b32_e32 v6, 0xff, v4
	s_mov_b64 s[10:11], 0
	v_cmp_eq_u64_e32 vcc, 0, v[6:7]
	s_and_saveexec_b64 s[2:3], vcc
	s_cbranch_execz .LBB35_8
; %bb.3:
	s_mov_b32 s7, 1
	v_mov_b64_e32 v[8:9], s[12:13]
.LBB35_4:                               ; =>This Loop Header: Depth=1
                                        ;     Child Loop BB35_5 Depth 2
	s_max_u32 s12, s7, 1
.LBB35_5:                               ;   Parent Loop BB35_4 Depth=1
                                        ; =>  This Inner Loop Header: Depth=2
	s_add_i32 s12, s12, -1
	s_cmp_eq_u32 s12, 0
	s_sleep 1
	s_cbranch_scc0 .LBB35_5
; %bb.6:                                ;   in Loop: Header=BB35_4 Depth=1
	s_cmp_lt_u32 s7, 32
	s_cselect_b64 s[12:13], -1, 0
	s_cmp_lg_u64 s[12:13], 0
	;;#ASMSTART
	global_load_dwordx4 v[2:5], v[8:9] off sc1	
s_waitcnt vmcnt(0)
	;;#ASMEND
	s_addc_u32 s7, s7, 0
	v_and_b32_e32 v6, 0xff, v4
	v_cmp_ne_u64_e32 vcc, 0, v[6:7]
	s_or_b64 s[10:11], vcc, s[10:11]
	s_andn2_b64 exec, exec, s[10:11]
	s_cbranch_execnz .LBB35_4
; %bb.7:
	s_or_b64 exec, exec, s[10:11]
.LBB35_8:
	s_or_b64 exec, exec, s[2:3]
	v_mov_b32_e32 v1, 0
	global_store_dwordx2 v1, v[2:3], s[8:9]
.LBB35_9:
	s_or_b64 exec, exec, s[0:1]
.LBB35_10:
	v_cmp_gt_u32_e32 vcc, s6, v0
	s_and_saveexec_b64 s[0:1], vcc
	s_cbranch_execnz .LBB35_13
; %bb.11:
	s_or_b64 exec, exec, s[0:1]
	v_cmp_gt_u32_e32 vcc, 64, v0
	s_and_saveexec_b64 s[0:1], vcc
	s_cbranch_execnz .LBB35_14
.LBB35_12:
	s_endpgm
.LBB35_13:
	v_add_u32_e32 v2, 64, v0
	v_mov_b32_e32 v3, 0
	v_lshl_add_u64 v[6:7], v[2:3], 4, s[4:5]
	v_mov_b32_e32 v2, v3
	v_mov_b32_e32 v4, v3
	;; [unrolled: 1-line block ×3, first 2 shown]
	global_store_dwordx4 v[6:7], v[2:5], off
	s_or_b64 exec, exec, s[0:1]
	v_cmp_gt_u32_e32 vcc, 64, v0
	s_and_saveexec_b64 s[0:1], vcc
	s_cbranch_execz .LBB35_12
.LBB35_14:
	v_mov_b32_e32 v1, 0
	v_lshl_add_u64 v[4:5], v[0:1], 4, s[4:5]
	v_mov_b32_e32 v2, 0xff
	v_mov_b32_e32 v0, v1
	;; [unrolled: 1-line block ×3, first 2 shown]
	global_store_dwordx4 v[4:5], v[0:3], off
	s_endpgm
	.section	.rodata,"a",@progbits
	.p2align	6, 0x0
	.amdhsa_kernel _ZN7rocprim17ROCPRIM_304000_NS6detail31init_lookback_scan_state_kernelINS1_19lookback_scan_stateIlLb1ELb1EEEEEvT_jjPNS5_10value_typeE
		.amdhsa_group_segment_fixed_size 0
		.amdhsa_private_segment_fixed_size 0
		.amdhsa_kernarg_size 280
		.amdhsa_user_sgpr_count 2
		.amdhsa_user_sgpr_dispatch_ptr 0
		.amdhsa_user_sgpr_queue_ptr 0
		.amdhsa_user_sgpr_kernarg_segment_ptr 1
		.amdhsa_user_sgpr_dispatch_id 0
		.amdhsa_user_sgpr_kernarg_preload_length 0
		.amdhsa_user_sgpr_kernarg_preload_offset 0
		.amdhsa_user_sgpr_private_segment_size 0
		.amdhsa_uses_dynamic_stack 0
		.amdhsa_enable_private_segment 0
		.amdhsa_system_sgpr_workgroup_id_x 1
		.amdhsa_system_sgpr_workgroup_id_y 0
		.amdhsa_system_sgpr_workgroup_id_z 0
		.amdhsa_system_sgpr_workgroup_info 0
		.amdhsa_system_vgpr_workitem_id 0
		.amdhsa_next_free_vgpr 10
		.amdhsa_next_free_sgpr 14
		.amdhsa_accum_offset 12
		.amdhsa_reserve_vcc 1
		.amdhsa_float_round_mode_32 0
		.amdhsa_float_round_mode_16_64 0
		.amdhsa_float_denorm_mode_32 3
		.amdhsa_float_denorm_mode_16_64 3
		.amdhsa_dx10_clamp 1
		.amdhsa_ieee_mode 1
		.amdhsa_fp16_overflow 0
		.amdhsa_tg_split 0
		.amdhsa_exception_fp_ieee_invalid_op 0
		.amdhsa_exception_fp_denorm_src 0
		.amdhsa_exception_fp_ieee_div_zero 0
		.amdhsa_exception_fp_ieee_overflow 0
		.amdhsa_exception_fp_ieee_underflow 0
		.amdhsa_exception_fp_ieee_inexact 0
		.amdhsa_exception_int_div_zero 0
	.end_amdhsa_kernel
	.section	.text._ZN7rocprim17ROCPRIM_304000_NS6detail31init_lookback_scan_state_kernelINS1_19lookback_scan_stateIlLb1ELb1EEEEEvT_jjPNS5_10value_typeE,"axG",@progbits,_ZN7rocprim17ROCPRIM_304000_NS6detail31init_lookback_scan_state_kernelINS1_19lookback_scan_stateIlLb1ELb1EEEEEvT_jjPNS5_10value_typeE,comdat
.Lfunc_end35:
	.size	_ZN7rocprim17ROCPRIM_304000_NS6detail31init_lookback_scan_state_kernelINS1_19lookback_scan_stateIlLb1ELb1EEEEEvT_jjPNS5_10value_typeE, .Lfunc_end35-_ZN7rocprim17ROCPRIM_304000_NS6detail31init_lookback_scan_state_kernelINS1_19lookback_scan_stateIlLb1ELb1EEEEEvT_jjPNS5_10value_typeE
                                        ; -- End function
	.section	.AMDGPU.csdata,"",@progbits
; Kernel info:
; codeLenInByte = 372
; NumSgprs: 20
; NumVgprs: 10
; NumAgprs: 0
; TotalNumVgprs: 10
; ScratchSize: 0
; MemoryBound: 0
; FloatMode: 240
; IeeeMode: 1
; LDSByteSize: 0 bytes/workgroup (compile time only)
; SGPRBlocks: 2
; VGPRBlocks: 1
; NumSGPRsForWavesPerEU: 20
; NumVGPRsForWavesPerEU: 10
; AccumOffset: 12
; Occupancy: 8
; WaveLimiterHint : 0
; COMPUTE_PGM_RSRC2:SCRATCH_EN: 0
; COMPUTE_PGM_RSRC2:USER_SGPR: 2
; COMPUTE_PGM_RSRC2:TRAP_HANDLER: 0
; COMPUTE_PGM_RSRC2:TGID_X_EN: 1
; COMPUTE_PGM_RSRC2:TGID_Y_EN: 0
; COMPUTE_PGM_RSRC2:TGID_Z_EN: 0
; COMPUTE_PGM_RSRC2:TIDIG_COMP_CNT: 0
; COMPUTE_PGM_RSRC3_GFX90A:ACCUM_OFFSET: 2
; COMPUTE_PGM_RSRC3_GFX90A:TG_SPLIT: 0
	.section	.text._ZN7rocprim17ROCPRIM_304000_NS6detail31init_lookback_scan_state_kernelINS1_19lookback_scan_stateIlLb0ELb1EEEEEvT_jjPNS5_10value_typeE,"axG",@progbits,_ZN7rocprim17ROCPRIM_304000_NS6detail31init_lookback_scan_state_kernelINS1_19lookback_scan_stateIlLb0ELb1EEEEEvT_jjPNS5_10value_typeE,comdat
	.protected	_ZN7rocprim17ROCPRIM_304000_NS6detail31init_lookback_scan_state_kernelINS1_19lookback_scan_stateIlLb0ELb1EEEEEvT_jjPNS5_10value_typeE ; -- Begin function _ZN7rocprim17ROCPRIM_304000_NS6detail31init_lookback_scan_state_kernelINS1_19lookback_scan_stateIlLb0ELb1EEEEEvT_jjPNS5_10value_typeE
	.globl	_ZN7rocprim17ROCPRIM_304000_NS6detail31init_lookback_scan_state_kernelINS1_19lookback_scan_stateIlLb0ELb1EEEEEvT_jjPNS5_10value_typeE
	.p2align	8
	.type	_ZN7rocprim17ROCPRIM_304000_NS6detail31init_lookback_scan_state_kernelINS1_19lookback_scan_stateIlLb0ELb1EEEEEvT_jjPNS5_10value_typeE,@function
_ZN7rocprim17ROCPRIM_304000_NS6detail31init_lookback_scan_state_kernelINS1_19lookback_scan_stateIlLb0ELb1EEEEEvT_jjPNS5_10value_typeE: ; @_ZN7rocprim17ROCPRIM_304000_NS6detail31init_lookback_scan_state_kernelINS1_19lookback_scan_stateIlLb0ELb1EEEEEvT_jjPNS5_10value_typeE
; %bb.0:
	s_load_dword s3, s[0:1], 0x24
	s_load_dwordx2 s[8:9], s[0:1], 0x10
	s_load_dwordx4 s[4:7], s[0:1], 0x0
	s_waitcnt lgkmcnt(0)
	s_and_b32 s0, s3, 0xffff
	s_mul_i32 s2, s2, s0
	s_cmp_eq_u64 s[8:9], 0
	v_add_u32_e32 v0, s2, v0
	s_cbranch_scc1 .LBB36_8
; %bb.1:
	s_cmp_lt_u32 s7, s6
	s_cselect_b32 s0, s7, 0
	s_mov_b32 s3, 0
	v_cmp_eq_u32_e32 vcc, s0, v0
	s_and_saveexec_b64 s[0:1], vcc
	s_cbranch_execz .LBB36_7
; %bb.2:
	s_add_i32 s2, s7, 64
	s_lshl_b64 s[2:3], s[2:3], 4
	s_add_u32 s12, s4, s2
	s_addc_u32 s13, s5, s3
	v_mov_b64_e32 v[2:3], s[12:13]
	;;#ASMSTART
	global_load_dwordx4 v[2:5], v[2:3] off sc1	
s_waitcnt vmcnt(0)
	;;#ASMEND
	v_mov_b32_e32 v7, 0
	v_and_b32_e32 v6, 0xff, v4
	s_mov_b64 s[10:11], 0
	v_cmp_eq_u64_e32 vcc, 0, v[6:7]
	s_and_saveexec_b64 s[2:3], vcc
	s_cbranch_execz .LBB36_6
; %bb.3:
	v_mov_b64_e32 v[8:9], s[12:13]
.LBB36_4:                               ; =>This Inner Loop Header: Depth=1
	;;#ASMSTART
	global_load_dwordx4 v[2:5], v[8:9] off sc1	
s_waitcnt vmcnt(0)
	;;#ASMEND
	s_nop 0
	v_and_b32_e32 v6, 0xff, v4
	v_cmp_ne_u64_e32 vcc, 0, v[6:7]
	s_or_b64 s[10:11], vcc, s[10:11]
	s_andn2_b64 exec, exec, s[10:11]
	s_cbranch_execnz .LBB36_4
; %bb.5:
	s_or_b64 exec, exec, s[10:11]
.LBB36_6:
	s_or_b64 exec, exec, s[2:3]
	v_mov_b32_e32 v1, 0
	global_store_dwordx2 v1, v[2:3], s[8:9]
.LBB36_7:
	s_or_b64 exec, exec, s[0:1]
.LBB36_8:
	v_cmp_gt_u32_e32 vcc, s6, v0
	s_and_saveexec_b64 s[0:1], vcc
	s_cbranch_execnz .LBB36_11
; %bb.9:
	s_or_b64 exec, exec, s[0:1]
	v_cmp_gt_u32_e32 vcc, 64, v0
	s_and_saveexec_b64 s[0:1], vcc
	s_cbranch_execnz .LBB36_12
.LBB36_10:
	s_endpgm
.LBB36_11:
	v_add_u32_e32 v2, 64, v0
	v_mov_b32_e32 v3, 0
	v_lshl_add_u64 v[6:7], v[2:3], 4, s[4:5]
	v_mov_b32_e32 v2, v3
	v_mov_b32_e32 v4, v3
	;; [unrolled: 1-line block ×3, first 2 shown]
	global_store_dwordx4 v[6:7], v[2:5], off
	s_or_b64 exec, exec, s[0:1]
	v_cmp_gt_u32_e32 vcc, 64, v0
	s_and_saveexec_b64 s[0:1], vcc
	s_cbranch_execz .LBB36_10
.LBB36_12:
	v_mov_b32_e32 v1, 0
	v_lshl_add_u64 v[4:5], v[0:1], 4, s[4:5]
	v_mov_b32_e32 v2, 0xff
	v_mov_b32_e32 v0, v1
	;; [unrolled: 1-line block ×3, first 2 shown]
	global_store_dwordx4 v[4:5], v[0:3], off
	s_endpgm
	.section	.rodata,"a",@progbits
	.p2align	6, 0x0
	.amdhsa_kernel _ZN7rocprim17ROCPRIM_304000_NS6detail31init_lookback_scan_state_kernelINS1_19lookback_scan_stateIlLb0ELb1EEEEEvT_jjPNS5_10value_typeE
		.amdhsa_group_segment_fixed_size 0
		.amdhsa_private_segment_fixed_size 0
		.amdhsa_kernarg_size 280
		.amdhsa_user_sgpr_count 2
		.amdhsa_user_sgpr_dispatch_ptr 0
		.amdhsa_user_sgpr_queue_ptr 0
		.amdhsa_user_sgpr_kernarg_segment_ptr 1
		.amdhsa_user_sgpr_dispatch_id 0
		.amdhsa_user_sgpr_kernarg_preload_length 0
		.amdhsa_user_sgpr_kernarg_preload_offset 0
		.amdhsa_user_sgpr_private_segment_size 0
		.amdhsa_uses_dynamic_stack 0
		.amdhsa_enable_private_segment 0
		.amdhsa_system_sgpr_workgroup_id_x 1
		.amdhsa_system_sgpr_workgroup_id_y 0
		.amdhsa_system_sgpr_workgroup_id_z 0
		.amdhsa_system_sgpr_workgroup_info 0
		.amdhsa_system_vgpr_workitem_id 0
		.amdhsa_next_free_vgpr 10
		.amdhsa_next_free_sgpr 14
		.amdhsa_accum_offset 12
		.amdhsa_reserve_vcc 1
		.amdhsa_float_round_mode_32 0
		.amdhsa_float_round_mode_16_64 0
		.amdhsa_float_denorm_mode_32 3
		.amdhsa_float_denorm_mode_16_64 3
		.amdhsa_dx10_clamp 1
		.amdhsa_ieee_mode 1
		.amdhsa_fp16_overflow 0
		.amdhsa_tg_split 0
		.amdhsa_exception_fp_ieee_invalid_op 0
		.amdhsa_exception_fp_denorm_src 0
		.amdhsa_exception_fp_ieee_div_zero 0
		.amdhsa_exception_fp_ieee_overflow 0
		.amdhsa_exception_fp_ieee_underflow 0
		.amdhsa_exception_fp_ieee_inexact 0
		.amdhsa_exception_int_div_zero 0
	.end_amdhsa_kernel
	.section	.text._ZN7rocprim17ROCPRIM_304000_NS6detail31init_lookback_scan_state_kernelINS1_19lookback_scan_stateIlLb0ELb1EEEEEvT_jjPNS5_10value_typeE,"axG",@progbits,_ZN7rocprim17ROCPRIM_304000_NS6detail31init_lookback_scan_state_kernelINS1_19lookback_scan_stateIlLb0ELb1EEEEEvT_jjPNS5_10value_typeE,comdat
.Lfunc_end36:
	.size	_ZN7rocprim17ROCPRIM_304000_NS6detail31init_lookback_scan_state_kernelINS1_19lookback_scan_stateIlLb0ELb1EEEEEvT_jjPNS5_10value_typeE, .Lfunc_end36-_ZN7rocprim17ROCPRIM_304000_NS6detail31init_lookback_scan_state_kernelINS1_19lookback_scan_stateIlLb0ELb1EEEEEvT_jjPNS5_10value_typeE
                                        ; -- End function
	.section	.AMDGPU.csdata,"",@progbits
; Kernel info:
; codeLenInByte = 336
; NumSgprs: 20
; NumVgprs: 10
; NumAgprs: 0
; TotalNumVgprs: 10
; ScratchSize: 0
; MemoryBound: 0
; FloatMode: 240
; IeeeMode: 1
; LDSByteSize: 0 bytes/workgroup (compile time only)
; SGPRBlocks: 2
; VGPRBlocks: 1
; NumSGPRsForWavesPerEU: 20
; NumVGPRsForWavesPerEU: 10
; AccumOffset: 12
; Occupancy: 8
; WaveLimiterHint : 0
; COMPUTE_PGM_RSRC2:SCRATCH_EN: 0
; COMPUTE_PGM_RSRC2:USER_SGPR: 2
; COMPUTE_PGM_RSRC2:TRAP_HANDLER: 0
; COMPUTE_PGM_RSRC2:TGID_X_EN: 1
; COMPUTE_PGM_RSRC2:TGID_Y_EN: 0
; COMPUTE_PGM_RSRC2:TGID_Z_EN: 0
; COMPUTE_PGM_RSRC2:TIDIG_COMP_CNT: 0
; COMPUTE_PGM_RSRC3_GFX90A:ACCUM_OFFSET: 2
; COMPUTE_PGM_RSRC3_GFX90A:TG_SPLIT: 0
	.section	.text._ZN7rocprim17ROCPRIM_304000_NS6detail20lookback_scan_kernelILNS1_25lookback_scan_determinismE0ELb0ENS1_19wrapped_scan_configINS0_14default_configElEEPKlPlSt4plusIlEllNS1_19lookback_scan_stateIlLb1ELb1EEEEEvT2_T3_mT5_T4_T7_jPT6_SK_bb,"axG",@progbits,_ZN7rocprim17ROCPRIM_304000_NS6detail20lookback_scan_kernelILNS1_25lookback_scan_determinismE0ELb0ENS1_19wrapped_scan_configINS0_14default_configElEEPKlPlSt4plusIlEllNS1_19lookback_scan_stateIlLb1ELb1EEEEEvT2_T3_mT5_T4_T7_jPT6_SK_bb,comdat
	.protected	_ZN7rocprim17ROCPRIM_304000_NS6detail20lookback_scan_kernelILNS1_25lookback_scan_determinismE0ELb0ENS1_19wrapped_scan_configINS0_14default_configElEEPKlPlSt4plusIlEllNS1_19lookback_scan_stateIlLb1ELb1EEEEEvT2_T3_mT5_T4_T7_jPT6_SK_bb ; -- Begin function _ZN7rocprim17ROCPRIM_304000_NS6detail20lookback_scan_kernelILNS1_25lookback_scan_determinismE0ELb0ENS1_19wrapped_scan_configINS0_14default_configElEEPKlPlSt4plusIlEllNS1_19lookback_scan_stateIlLb1ELb1EEEEEvT2_T3_mT5_T4_T7_jPT6_SK_bb
	.globl	_ZN7rocprim17ROCPRIM_304000_NS6detail20lookback_scan_kernelILNS1_25lookback_scan_determinismE0ELb0ENS1_19wrapped_scan_configINS0_14default_configElEEPKlPlSt4plusIlEllNS1_19lookback_scan_stateIlLb1ELb1EEEEEvT2_T3_mT5_T4_T7_jPT6_SK_bb
	.p2align	8
	.type	_ZN7rocprim17ROCPRIM_304000_NS6detail20lookback_scan_kernelILNS1_25lookback_scan_determinismE0ELb0ENS1_19wrapped_scan_configINS0_14default_configElEEPKlPlSt4plusIlEllNS1_19lookback_scan_stateIlLb1ELb1EEEEEvT2_T3_mT5_T4_T7_jPT6_SK_bb,@function
_ZN7rocprim17ROCPRIM_304000_NS6detail20lookback_scan_kernelILNS1_25lookback_scan_determinismE0ELb0ENS1_19wrapped_scan_configINS0_14default_configElEEPKlPlSt4plusIlEllNS1_19lookback_scan_stateIlLb1ELb1EEEEEvT2_T3_mT5_T4_T7_jPT6_SK_bb: ; @_ZN7rocprim17ROCPRIM_304000_NS6detail20lookback_scan_kernelILNS1_25lookback_scan_determinismE0ELb0ENS1_19wrapped_scan_configINS0_14default_configElEEPKlPlSt4plusIlEllNS1_19lookback_scan_stateIlLb1ELb1EEEEEvT2_T3_mT5_T4_T7_jPT6_SK_bb
; %bb.0:
	s_endpgm
	.section	.rodata,"a",@progbits
	.p2align	6, 0x0
	.amdhsa_kernel _ZN7rocprim17ROCPRIM_304000_NS6detail20lookback_scan_kernelILNS1_25lookback_scan_determinismE0ELb0ENS1_19wrapped_scan_configINS0_14default_configElEEPKlPlSt4plusIlEllNS1_19lookback_scan_stateIlLb1ELb1EEEEEvT2_T3_mT5_T4_T7_jPT6_SK_bb
		.amdhsa_group_segment_fixed_size 0
		.amdhsa_private_segment_fixed_size 0
		.amdhsa_kernarg_size 76
		.amdhsa_user_sgpr_count 2
		.amdhsa_user_sgpr_dispatch_ptr 0
		.amdhsa_user_sgpr_queue_ptr 0
		.amdhsa_user_sgpr_kernarg_segment_ptr 1
		.amdhsa_user_sgpr_dispatch_id 0
		.amdhsa_user_sgpr_kernarg_preload_length 0
		.amdhsa_user_sgpr_kernarg_preload_offset 0
		.amdhsa_user_sgpr_private_segment_size 0
		.amdhsa_uses_dynamic_stack 0
		.amdhsa_enable_private_segment 0
		.amdhsa_system_sgpr_workgroup_id_x 1
		.amdhsa_system_sgpr_workgroup_id_y 0
		.amdhsa_system_sgpr_workgroup_id_z 0
		.amdhsa_system_sgpr_workgroup_info 0
		.amdhsa_system_vgpr_workitem_id 0
		.amdhsa_next_free_vgpr 1
		.amdhsa_next_free_sgpr 0
		.amdhsa_accum_offset 4
		.amdhsa_reserve_vcc 0
		.amdhsa_float_round_mode_32 0
		.amdhsa_float_round_mode_16_64 0
		.amdhsa_float_denorm_mode_32 3
		.amdhsa_float_denorm_mode_16_64 3
		.amdhsa_dx10_clamp 1
		.amdhsa_ieee_mode 1
		.amdhsa_fp16_overflow 0
		.amdhsa_tg_split 0
		.amdhsa_exception_fp_ieee_invalid_op 0
		.amdhsa_exception_fp_denorm_src 0
		.amdhsa_exception_fp_ieee_div_zero 0
		.amdhsa_exception_fp_ieee_overflow 0
		.amdhsa_exception_fp_ieee_underflow 0
		.amdhsa_exception_fp_ieee_inexact 0
		.amdhsa_exception_int_div_zero 0
	.end_amdhsa_kernel
	.section	.text._ZN7rocprim17ROCPRIM_304000_NS6detail20lookback_scan_kernelILNS1_25lookback_scan_determinismE0ELb0ENS1_19wrapped_scan_configINS0_14default_configElEEPKlPlSt4plusIlEllNS1_19lookback_scan_stateIlLb1ELb1EEEEEvT2_T3_mT5_T4_T7_jPT6_SK_bb,"axG",@progbits,_ZN7rocprim17ROCPRIM_304000_NS6detail20lookback_scan_kernelILNS1_25lookback_scan_determinismE0ELb0ENS1_19wrapped_scan_configINS0_14default_configElEEPKlPlSt4plusIlEllNS1_19lookback_scan_stateIlLb1ELb1EEEEEvT2_T3_mT5_T4_T7_jPT6_SK_bb,comdat
.Lfunc_end37:
	.size	_ZN7rocprim17ROCPRIM_304000_NS6detail20lookback_scan_kernelILNS1_25lookback_scan_determinismE0ELb0ENS1_19wrapped_scan_configINS0_14default_configElEEPKlPlSt4plusIlEllNS1_19lookback_scan_stateIlLb1ELb1EEEEEvT2_T3_mT5_T4_T7_jPT6_SK_bb, .Lfunc_end37-_ZN7rocprim17ROCPRIM_304000_NS6detail20lookback_scan_kernelILNS1_25lookback_scan_determinismE0ELb0ENS1_19wrapped_scan_configINS0_14default_configElEEPKlPlSt4plusIlEllNS1_19lookback_scan_stateIlLb1ELb1EEEEEvT2_T3_mT5_T4_T7_jPT6_SK_bb
                                        ; -- End function
	.section	.AMDGPU.csdata,"",@progbits
; Kernel info:
; codeLenInByte = 4
; NumSgprs: 6
; NumVgprs: 0
; NumAgprs: 0
; TotalNumVgprs: 0
; ScratchSize: 0
; MemoryBound: 0
; FloatMode: 240
; IeeeMode: 1
; LDSByteSize: 0 bytes/workgroup (compile time only)
; SGPRBlocks: 0
; VGPRBlocks: 0
; NumSGPRsForWavesPerEU: 6
; NumVGPRsForWavesPerEU: 1
; AccumOffset: 4
; Occupancy: 8
; WaveLimiterHint : 0
; COMPUTE_PGM_RSRC2:SCRATCH_EN: 0
; COMPUTE_PGM_RSRC2:USER_SGPR: 2
; COMPUTE_PGM_RSRC2:TRAP_HANDLER: 0
; COMPUTE_PGM_RSRC2:TGID_X_EN: 1
; COMPUTE_PGM_RSRC2:TGID_Y_EN: 0
; COMPUTE_PGM_RSRC2:TGID_Z_EN: 0
; COMPUTE_PGM_RSRC2:TIDIG_COMP_CNT: 0
; COMPUTE_PGM_RSRC3_GFX90A:ACCUM_OFFSET: 0
; COMPUTE_PGM_RSRC3_GFX90A:TG_SPLIT: 0
	.section	.text._ZN7rocprim17ROCPRIM_304000_NS6detail20lookback_scan_kernelILNS1_25lookback_scan_determinismE0ELb0ENS1_19wrapped_scan_configINS0_14default_configElEEPKlPlSt4plusIlEllNS1_19lookback_scan_stateIlLb0ELb1EEEEEvT2_T3_mT5_T4_T7_jPT6_SK_bb,"axG",@progbits,_ZN7rocprim17ROCPRIM_304000_NS6detail20lookback_scan_kernelILNS1_25lookback_scan_determinismE0ELb0ENS1_19wrapped_scan_configINS0_14default_configElEEPKlPlSt4plusIlEllNS1_19lookback_scan_stateIlLb0ELb1EEEEEvT2_T3_mT5_T4_T7_jPT6_SK_bb,comdat
	.protected	_ZN7rocprim17ROCPRIM_304000_NS6detail20lookback_scan_kernelILNS1_25lookback_scan_determinismE0ELb0ENS1_19wrapped_scan_configINS0_14default_configElEEPKlPlSt4plusIlEllNS1_19lookback_scan_stateIlLb0ELb1EEEEEvT2_T3_mT5_T4_T7_jPT6_SK_bb ; -- Begin function _ZN7rocprim17ROCPRIM_304000_NS6detail20lookback_scan_kernelILNS1_25lookback_scan_determinismE0ELb0ENS1_19wrapped_scan_configINS0_14default_configElEEPKlPlSt4plusIlEllNS1_19lookback_scan_stateIlLb0ELb1EEEEEvT2_T3_mT5_T4_T7_jPT6_SK_bb
	.globl	_ZN7rocprim17ROCPRIM_304000_NS6detail20lookback_scan_kernelILNS1_25lookback_scan_determinismE0ELb0ENS1_19wrapped_scan_configINS0_14default_configElEEPKlPlSt4plusIlEllNS1_19lookback_scan_stateIlLb0ELb1EEEEEvT2_T3_mT5_T4_T7_jPT6_SK_bb
	.p2align	8
	.type	_ZN7rocprim17ROCPRIM_304000_NS6detail20lookback_scan_kernelILNS1_25lookback_scan_determinismE0ELb0ENS1_19wrapped_scan_configINS0_14default_configElEEPKlPlSt4plusIlEllNS1_19lookback_scan_stateIlLb0ELb1EEEEEvT2_T3_mT5_T4_T7_jPT6_SK_bb,@function
_ZN7rocprim17ROCPRIM_304000_NS6detail20lookback_scan_kernelILNS1_25lookback_scan_determinismE0ELb0ENS1_19wrapped_scan_configINS0_14default_configElEEPKlPlSt4plusIlEllNS1_19lookback_scan_stateIlLb0ELb1EEEEEvT2_T3_mT5_T4_T7_jPT6_SK_bb: ; @_ZN7rocprim17ROCPRIM_304000_NS6detail20lookback_scan_kernelILNS1_25lookback_scan_determinismE0ELb0ENS1_19wrapped_scan_configINS0_14default_configElEEPKlPlSt4plusIlEllNS1_19lookback_scan_stateIlLb0ELb1EEEEEvT2_T3_mT5_T4_T7_jPT6_SK_bb
; %bb.0:
	s_load_dword s3, s[0:1], 0x30
	s_load_dwordx4 s[12:15], s[0:1], 0x0
	s_load_dwordx2 s[4:5], s[0:1], 0x10
	s_mul_i32 s6, s2, 0xf00
	s_mov_b32 s7, 0
	s_waitcnt lgkmcnt(0)
	s_add_i32 s3, s3, -1
	s_mul_i32 s8, s3, 0xf00
	s_sub_u32 s24, s4, s8
	s_subb_u32 s25, s5, 0
	s_cmp_lg_u32 s2, s3
	s_cselect_b64 s[16:17], -1, 0
	s_lshl_b64 s[18:19], s[6:7], 3
	s_add_u32 s6, s12, s18
	s_addc_u32 s7, s13, s19
	s_mov_b64 s[4:5], -1
	s_and_b64 vcc, exec, s[16:17]
	v_lshlrev_b32_e32 v62, 3, v0
	s_cbranch_vccz .LBB38_2
; %bb.1:
	v_mov_b32_e32 v63, 0
	v_lshl_add_u64 v[2:3], s[6:7], 0, v[62:63]
	v_add_co_u32_e32 v8, vcc, 0x1000, v2
	global_load_dwordx2 v[4:5], v62, s[6:7]
	global_load_dwordx2 v[6:7], v62, s[6:7] offset:2048
	v_addc_co_u32_e32 v9, vcc, 0, v3, vcc
	v_add_co_u32_e32 v10, vcc, 0x2000, v2
	s_mov_b64 s[4:5], 0
	s_nop 0
	v_addc_co_u32_e32 v11, vcc, 0, v3, vcc
	global_load_dwordx2 v[12:13], v[8:9], off
	global_load_dwordx2 v[14:15], v[8:9], off offset:2048
	global_load_dwordx2 v[16:17], v[10:11], off
	global_load_dwordx2 v[18:19], v[10:11], off offset:2048
	v_add_co_u32_e32 v8, vcc, 0x3000, v2
	s_nop 1
	v_addc_co_u32_e32 v9, vcc, 0, v3, vcc
	v_add_co_u32_e32 v10, vcc, 0x4000, v2
	s_nop 1
	v_addc_co_u32_e32 v11, vcc, 0, v3, vcc
	global_load_dwordx2 v[20:21], v[8:9], off
	global_load_dwordx2 v[22:23], v[8:9], off offset:2048
	global_load_dwordx2 v[24:25], v[10:11], off
	global_load_dwordx2 v[26:27], v[10:11], off offset:2048
	v_add_co_u32_e32 v8, vcc, 0x5000, v2
	s_nop 1
	v_addc_co_u32_e32 v9, vcc, 0, v3, vcc
	v_add_co_u32_e32 v10, vcc, 0x6000, v2
	s_nop 1
	v_addc_co_u32_e32 v11, vcc, 0, v3, vcc
	global_load_dwordx2 v[28:29], v[8:9], off
	global_load_dwordx2 v[30:31], v[8:9], off offset:2048
	global_load_dwordx2 v[32:33], v[10:11], off
	global_load_dwordx2 v[34:35], v[10:11], off offset:2048
	v_add_co_u32_e32 v2, vcc, 0x7000, v2
	s_nop 1
	v_addc_co_u32_e32 v3, vcc, 0, v3, vcc
	global_load_dwordx2 v[2:3], v[2:3], off
	s_waitcnt vmcnt(13)
	ds_write2st64_b64 v62, v[4:5], v[6:7] offset1:4
	s_waitcnt vmcnt(11)
	ds_write2st64_b64 v62, v[12:13], v[14:15] offset0:8 offset1:12
	s_waitcnt vmcnt(9)
	ds_write2st64_b64 v62, v[16:17], v[18:19] offset0:16 offset1:20
	;; [unrolled: 2-line block ×6, first 2 shown]
	s_waitcnt vmcnt(0)
	ds_write_b64 v62, v[2:3] offset:28672
	s_waitcnt lgkmcnt(0)
	s_barrier
.LBB38_2:
	s_andn2_b64 vcc, exec, s[4:5]
	v_cmp_gt_u32_e64 s[4:5], s24, v0
	s_cbranch_vccnz .LBB38_34
; %bb.3:
	s_load_dwordx2 s[36:37], s[6:7], 0x0
	v_mov_b32_e32 v63, 0
	v_lshl_add_u64 v[34:35], s[6:7], 0, v[62:63]
	s_waitcnt lgkmcnt(0)
	s_mov_b32 s38, s36
	s_mov_b32 s39, s37
	;; [unrolled: 1-line block ×28, first 2 shown]
	v_mov_b64_e32 v[2:3], s[36:37]
	v_mov_b64_e32 v[4:5], s[38:39]
	;; [unrolled: 1-line block ×16, first 2 shown]
	s_and_saveexec_b64 s[6:7], s[4:5]
	s_cbranch_execz .LBB38_5
; %bb.4:
	global_load_dwordx2 v[2:3], v[34:35], off
	v_mov_b32_e32 v4, s36
	v_mov_b32_e32 v5, s37
	;; [unrolled: 1-line block ×28, first 2 shown]
.LBB38_5:
	s_or_b64 exec, exec, s[6:7]
	v_or_b32_e32 v1, 0x100, v0
	v_cmp_gt_u32_e32 vcc, s24, v1
	s_and_saveexec_b64 s[4:5], vcc
	s_cbranch_execz .LBB38_7
; %bb.6:
	global_load_dwordx2 v[4:5], v[34:35], off offset:2048
.LBB38_7:
	s_or_b64 exec, exec, s[4:5]
	v_or_b32_e32 v1, 0x200, v0
	v_cmp_gt_u32_e32 vcc, s24, v1
	s_and_saveexec_b64 s[4:5], vcc
	s_cbranch_execz .LBB38_9
; %bb.8:
	v_add_co_u32_e32 v6, vcc, 0x1000, v34
	s_nop 1
	v_addc_co_u32_e32 v7, vcc, 0, v35, vcc
	global_load_dwordx2 v[6:7], v[6:7], off
.LBB38_9:
	s_or_b64 exec, exec, s[4:5]
	v_or_b32_e32 v1, 0x300, v0
	v_cmp_gt_u32_e32 vcc, s24, v1
	s_and_saveexec_b64 s[4:5], vcc
	s_cbranch_execz .LBB38_11
; %bb.10:
	v_add_co_u32_e32 v8, vcc, 0x1000, v34
	s_nop 1
	v_addc_co_u32_e32 v9, vcc, 0, v35, vcc
	global_load_dwordx2 v[8:9], v[8:9], off offset:2048
.LBB38_11:
	s_or_b64 exec, exec, s[4:5]
	v_or_b32_e32 v1, 0x400, v0
	v_cmp_gt_u32_e32 vcc, s24, v1
	s_and_saveexec_b64 s[4:5], vcc
	s_cbranch_execz .LBB38_13
; %bb.12:
	v_add_co_u32_e32 v10, vcc, 0x2000, v34
	s_nop 1
	v_addc_co_u32_e32 v11, vcc, 0, v35, vcc
	global_load_dwordx2 v[10:11], v[10:11], off
.LBB38_13:
	s_or_b64 exec, exec, s[4:5]
	v_or_b32_e32 v1, 0x500, v0
	v_cmp_gt_u32_e32 vcc, s24, v1
	s_and_saveexec_b64 s[4:5], vcc
	s_cbranch_execz .LBB38_15
; %bb.14:
	v_add_co_u32_e32 v12, vcc, 0x2000, v34
	s_nop 1
	v_addc_co_u32_e32 v13, vcc, 0, v35, vcc
	global_load_dwordx2 v[12:13], v[12:13], off offset:2048
.LBB38_15:
	;; [unrolled: 22-line block ×6, first 2 shown]
	s_or_b64 exec, exec, s[4:5]
	v_or_b32_e32 v1, 0xe00, v0
	v_cmp_gt_u32_e32 vcc, s24, v1
	s_and_saveexec_b64 s[4:5], vcc
	s_cbranch_execz .LBB38_33
; %bb.32:
	v_add_co_u32_e32 v30, vcc, 0x7000, v34
	s_nop 1
	v_addc_co_u32_e32 v31, vcc, 0, v35, vcc
	global_load_dwordx2 v[30:31], v[30:31], off
.LBB38_33:
	s_or_b64 exec, exec, s[4:5]
	s_waitcnt vmcnt(0)
	ds_write2st64_b64 v62, v[2:3], v[4:5] offset1:4
	ds_write2st64_b64 v62, v[6:7], v[8:9] offset0:8 offset1:12
	ds_write2st64_b64 v62, v[10:11], v[12:13] offset0:16 offset1:20
	;; [unrolled: 1-line block ×6, first 2 shown]
	ds_write_b64 v62, v[30:31] offset:28672
	s_waitcnt lgkmcnt(0)
	s_barrier
.LBB38_34:
	v_mul_u32_u24_e32 v66, 15, v0
	v_lshlrev_b32_e32 v1, 3, v66
	ds_read2_b64 v[34:37], v1 offset1:1
	ds_read2_b64 v[38:41], v1 offset0:2 offset1:3
	ds_read2_b64 v[42:45], v1 offset0:4 offset1:5
	;; [unrolled: 1-line block ×6, first 2 shown]
	ds_read_b64 v[64:65], v1 offset:112
	s_load_dwordx2 s[20:21], s[0:1], 0x28
	s_cmp_lg_u32 s2, 0
	v_lshrrev_b32_e32 v1, 5, v0
	v_cmp_gt_u32_e32 vcc, 64, v0
	s_waitcnt lgkmcnt(0)
	s_barrier
	s_cbranch_scc0 .LBB38_59
; %bb.35:
	v_lshl_add_u64 v[2:3], v[36:37], 0, v[34:35]
	v_lshl_add_u64 v[2:3], v[2:3], 0, v[38:39]
	;; [unrolled: 1-line block ×14, first 2 shown]
	v_add_lshl_u32 v4, v1, v0, 3
	ds_write_b64 v4, v[2:3]
	s_waitcnt lgkmcnt(0)
	s_barrier
	s_and_saveexec_b64 s[6:7], vcc
	s_cbranch_execz .LBB38_37
; %bb.36:
	v_lshlrev_b32_e32 v4, 2, v0
	v_lshrrev_b32_e32 v5, 3, v0
	v_add_lshl_u32 v20, v5, v4, 3
	ds_read2_b64 v[4:7], v20 offset1:1
	ds_read2_b64 v[8:11], v20 offset0:2 offset1:3
	v_mbcnt_lo_u32_b32 v13, -1, 0
	v_mov_b32_e32 v12, 0
	v_mbcnt_hi_u32_b32 v21, -1, v13
	s_waitcnt lgkmcnt(1)
	v_lshl_add_u64 v[14:15], v[6:7], 0, v[4:5]
	s_waitcnt lgkmcnt(0)
	v_lshl_add_u64 v[14:15], v[14:15], 0, v[8:9]
	v_lshl_add_u64 v[14:15], v[14:15], 0, v[10:11]
	v_and_b32_e32 v22, 15, v21
	v_mov_b32_e32 v17, v12
	v_mov_b32_dpp v16, v14 row_shr:1 row_mask:0xf bank_mask:0xf
	v_mov_b32_dpp v13, v15 row_shr:1 row_mask:0xf bank_mask:0xf
	v_lshl_add_u64 v[16:17], v[14:15], 0, v[16:17]
	v_cmp_eq_u32_e64 s[4:5], 0, v22
	v_lshl_add_u64 v[18:19], v[12:13], 0, v[16:17]
	v_mov_b32_e32 v17, v12
	v_cndmask_b32_e64 v23, v16, v14, s[4:5]
	v_cndmask_b32_e64 v15, v19, v15, s[4:5]
	v_cndmask_b32_e64 v14, v18, v14, s[4:5]
	v_mov_b32_dpp v16, v23 row_shr:2 row_mask:0xf bank_mask:0xf
	v_mov_b32_dpp v13, v15 row_shr:2 row_mask:0xf bank_mask:0xf
	v_lshl_add_u64 v[16:17], v[14:15], 0, v[16:17]
	v_cmp_lt_u32_e64 s[4:5], 1, v22
	v_lshl_add_u64 v[18:19], v[16:17], 0, v[12:13]
	v_mov_b32_e32 v17, v12
	v_cndmask_b32_e64 v23, v23, v16, s[4:5]
	v_cndmask_b32_e64 v15, v15, v19, s[4:5]
	v_cndmask_b32_e64 v14, v14, v18, s[4:5]
	v_mov_b32_dpp v16, v23 row_shr:4 row_mask:0xf bank_mask:0xf
	v_mov_b32_dpp v13, v15 row_shr:4 row_mask:0xf bank_mask:0xf
	v_lshl_add_u64 v[16:17], v[14:15], 0, v[16:17]
	v_cmp_lt_u32_e64 s[4:5], 3, v22
	;; [unrolled: 9-line block ×3, first 2 shown]
	v_lshl_add_u64 v[18:19], v[16:17], 0, v[12:13]
	v_mov_b32_e32 v17, v12
	v_cndmask_b32_e64 v22, v23, v16, s[4:5]
	v_cndmask_b32_e64 v15, v15, v19, s[4:5]
	v_cndmask_b32_e64 v14, v14, v18, s[4:5]
	v_mov_b32_dpp v16, v22 row_bcast:15 row_mask:0xf bank_mask:0xf
	v_and_b32_e32 v23, 16, v21
	v_mov_b32_dpp v13, v15 row_bcast:15 row_mask:0xf bank_mask:0xf
	v_lshl_add_u64 v[16:17], v[14:15], 0, v[16:17]
	v_cmp_eq_u32_e64 s[4:5], 0, v23
	v_lshl_add_u64 v[18:19], v[16:17], 0, v[12:13]
	v_mov_b32_e32 v17, v12
	v_cndmask_b32_e64 v13, v16, v22, s[4:5]
	v_cndmask_b32_e64 v15, v19, v15, s[4:5]
	;; [unrolled: 1-line block ×3, first 2 shown]
	v_mov_b32_dpp v16, v13 row_bcast:31 row_mask:0xf bank_mask:0xf
	v_mov_b32_dpp v18, v15 row_bcast:31 row_mask:0xf bank_mask:0xf
	v_lshl_add_u64 v[16:17], v[14:15], 0, v[16:17]
	v_add_u32_e32 v14, v18, v17
	v_cmp_lt_u32_e64 s[4:5], 31, v21
	s_nop 1
	v_cndmask_b32_e64 v13, v13, v16, s[4:5]
	v_cndmask_b32_e64 v15, v15, v14, s[4:5]
	v_add_u32_e32 v14, -1, v21
	v_and_b32_e32 v16, 64, v21
	v_cmp_lt_i32_e64 s[4:5], v14, v16
	s_nop 1
	v_cndmask_b32_e64 v14, v14, v21, s[4:5]
	v_lshlrev_b32_e32 v16, 2, v14
	ds_bpermute_b32 v14, v16, v13
	ds_bpermute_b32 v13, v16, v15
	v_mov_b32_e32 v15, v12
	v_cmp_eq_u32_e64 s[4:5], 0, v0
	s_waitcnt lgkmcnt(1)
	v_lshl_add_u64 v[4:5], v[4:5], 0, v[14:15]
	s_waitcnt lgkmcnt(0)
	v_lshl_add_u64 v[4:5], v[4:5], 0, v[12:13]
	v_cndmask_b32_e64 v3, v5, v3, s[4:5]
	v_cndmask_b32_e64 v2, v4, v2, s[4:5]
	v_lshl_add_u64 v[4:5], v[2:3], 0, v[6:7]
	ds_write2_b64 v20, v[2:3], v[4:5] offset1:1
	v_lshl_add_u64 v[2:3], v[4:5], 0, v[8:9]
	v_lshl_add_u64 v[4:5], v[2:3], 0, v[10:11]
	ds_write2_b64 v20, v[2:3], v[4:5] offset0:2 offset1:3
.LBB38_37:
	s_or_b64 exec, exec, s[6:7]
	v_cmp_eq_u32_e64 s[6:7], 0, v0
	v_cmp_ne_u32_e64 s[4:5], 0, v0
	v_mov_b64_e32 v[10:11], 0
	s_waitcnt lgkmcnt(0)
	s_barrier
	s_and_saveexec_b64 s[8:9], s[4:5]
	s_cbranch_execz .LBB38_39
; %bb.38:
	v_add_u32_e32 v2, -1, v0
	v_lshrrev_b32_e32 v3, 5, v2
	v_add_lshl_u32 v2, v3, v2, 3
	ds_read_b64 v[10:11], v2
.LBB38_39:
	s_or_b64 exec, exec, s[8:9]
	s_and_saveexec_b64 s[22:23], vcc
	s_cbranch_execz .LBB38_58
; %bb.40:
	v_mov_b32_e32 v5, 0
	ds_read_b64 v[2:3], v5 offset:2096
	v_mbcnt_lo_u32_b32 v4, -1, 0
	v_mbcnt_hi_u32_b32 v16, -1, v4
	s_mov_b32 s11, 0
	v_cmp_eq_u32_e64 s[4:5], 0, v16
	s_and_saveexec_b64 s[8:9], s[4:5]
	s_cbranch_execz .LBB38_42
; %bb.41:
	s_add_i32 s10, s2, 64
	s_lshl_b64 s[10:11], s[10:11], 4
	s_add_u32 s10, s20, s10
	s_addc_u32 s11, s21, s11
	v_mov_b32_e32 v4, 1
	v_mov_b64_e32 v[6:7], s[10:11]
	s_waitcnt lgkmcnt(0)
	;;#ASMSTART
	global_store_dwordx4 v[6:7], v[2:5] off sc1	
s_waitcnt vmcnt(0)
	;;#ASMEND
.LBB38_42:
	s_or_b64 exec, exec, s[8:9]
	v_xad_u32 v12, v16, -1, s2
	v_add_u32_e32 v4, 64, v12
	v_lshl_add_u64 v[14:15], v[4:5], 4, s[20:21]
	;;#ASMSTART
	global_load_dwordx4 v[6:9], v[14:15] off sc1	
s_waitcnt vmcnt(0)
	;;#ASMEND
	s_nop 0
	v_cmp_eq_u16_sdwa s[10:11], v8, v5 src0_sel:BYTE_0 src1_sel:DWORD
	s_and_saveexec_b64 s[8:9], s[10:11]
	s_cbranch_execz .LBB38_46
; %bb.43:
	s_mov_b64 s[10:11], 0
	v_mov_b32_e32 v4, 0
.LBB38_44:                              ; =>This Inner Loop Header: Depth=1
	;;#ASMSTART
	global_load_dwordx4 v[6:9], v[14:15] off sc1	
s_waitcnt vmcnt(0)
	;;#ASMEND
	s_nop 0
	v_cmp_ne_u16_sdwa s[12:13], v8, v4 src0_sel:BYTE_0 src1_sel:DWORD
	s_or_b64 s[10:11], s[12:13], s[10:11]
	s_andn2_b64 exec, exec, s[10:11]
	s_cbranch_execnz .LBB38_44
; %bb.45:
	s_or_b64 exec, exec, s[10:11]
.LBB38_46:
	s_or_b64 exec, exec, s[8:9]
	v_and_b32_e32 v17, 63, v16
	v_mov_b32_e32 v18, 2
	v_cmp_ne_u32_e32 vcc, 63, v17
	v_cmp_eq_u16_sdwa s[8:9], v8, v18 src0_sel:BYTE_0 src1_sel:DWORD
	v_lshlrev_b64 v[4:5], v16, -1
	v_addc_co_u32_e32 v14, vcc, 0, v16, vcc
	v_and_b32_e32 v9, s9, v5
	v_lshlrev_b32_e32 v19, 2, v14
	v_or_b32_e32 v9, 0x80000000, v9
	ds_bpermute_b32 v14, v19, v6
	v_and_b32_e32 v13, s8, v4
	v_ffbl_b32_e32 v9, v9
	ds_bpermute_b32 v23, v19, v7
	v_add_u32_e32 v9, 32, v9
	v_ffbl_b32_e32 v13, v13
	v_min_u32_e32 v9, v13, v9
	v_mov_b32_e32 v13, 0
	v_add_u32_e32 v20, 1, v16
	v_mov_b32_e32 v15, v13
	v_mov_b32_e32 v22, v13
	s_waitcnt lgkmcnt(1)
	v_lshl_add_u64 v[14:15], v[6:7], 0, v[14:15]
	v_cmp_le_u32_e32 vcc, v20, v9
	v_cmp_gt_u32_e64 s[8:9], 62, v17
	s_waitcnt lgkmcnt(0)
	v_lshl_add_u64 v[22:23], v[22:23], 0, v[14:15]
	v_cndmask_b32_e32 v26, v6, v14, vcc
	v_cndmask_b32_e64 v14, 0, 1, s[8:9]
	v_lshlrev_b32_e32 v14, 1, v14
	v_cndmask_b32_e32 v15, v7, v23, vcc
	v_add_lshl_u32 v21, v14, v16, 2
	ds_bpermute_b32 v24, v21, v26
	ds_bpermute_b32 v25, v21, v15
	v_cmp_gt_u32_e64 s[10:11], 60, v17
	v_cndmask_b32_e32 v14, v6, v22, vcc
	v_add_u32_e32 v22, 2, v16
	v_cndmask_b32_e64 v23, 0, 1, s[10:11]
	s_waitcnt lgkmcnt(0)
	v_lshl_add_u64 v[24:25], v[24:25], 0, v[14:15]
	v_cmp_le_u32_e64 s[8:9], v22, v9
	v_lshlrev_b32_e32 v23, 2, v23
	v_add_lshl_u32 v23, v23, v16, 2
	v_cndmask_b32_e64 v28, v26, v24, s[8:9]
	v_cndmask_b32_e64 v15, v15, v25, s[8:9]
	ds_bpermute_b32 v26, v23, v28
	ds_bpermute_b32 v27, v23, v15
	v_cmp_gt_u32_e64 s[12:13], 56, v17
	v_cndmask_b32_e64 v14, v14, v24, s[8:9]
	v_add_u32_e32 v24, 4, v16
	v_cndmask_b32_e64 v25, 0, 1, s[12:13]
	s_waitcnt lgkmcnt(0)
	v_lshl_add_u64 v[26:27], v[26:27], 0, v[14:15]
	v_cmp_le_u32_e64 s[10:11], v24, v9
	v_lshlrev_b32_e32 v25, 3, v25
	v_add_lshl_u32 v25, v25, v16, 2
	v_cndmask_b32_e64 v30, v28, v26, s[10:11]
	v_cndmask_b32_e64 v15, v15, v27, s[10:11]
	ds_bpermute_b32 v28, v25, v30
	ds_bpermute_b32 v29, v25, v15
	s_or_b64 s[12:13], vcc, s[8:9]
	v_cmp_gt_u32_e64 s[8:9], 48, v17
	v_cndmask_b32_e64 v14, v14, v26, s[10:11]
	v_add_u32_e32 v26, 8, v16
	v_cndmask_b32_e64 v27, 0, 1, s[8:9]
	s_waitcnt lgkmcnt(0)
	v_lshl_add_u64 v[28:29], v[28:29], 0, v[14:15]
	v_cmp_le_u32_e32 vcc, v26, v9
	v_lshlrev_b32_e32 v27, 4, v27
	v_add_lshl_u32 v27, v27, v16, 2
	v_cndmask_b32_e32 v63, v30, v28, vcc
	v_cndmask_b32_e32 v15, v15, v29, vcc
	ds_bpermute_b32 v30, v27, v63
	ds_bpermute_b32 v31, v27, v15
	s_or_b64 s[8:9], s[10:11], s[12:13]
	v_cndmask_b32_e32 v14, v14, v28, vcc
	v_add_u32_e32 v28, 16, v16
	s_or_b64 s[8:9], vcc, s[8:9]
	v_cmp_le_u32_e32 vcc, v28, v9
	s_or_b64 s[10:11], vcc, s[8:9]
	v_cmp_gt_u32_e64 s[8:9], 32, v17
	s_waitcnt lgkmcnt(0)
	v_lshl_add_u64 v[32:33], v[30:31], 0, v[14:15]
	v_cndmask_b32_e32 v30, v63, v32, vcc
	v_cndmask_b32_e64 v17, 0, 1, s[8:9]
	v_lshlrev_b32_e32 v17, 5, v17
	v_add_lshl_u32 v29, v17, v16, 2
	v_cndmask_b32_e32 v15, v15, v33, vcc
	ds_bpermute_b32 v17, v29, v15
	ds_bpermute_b32 v31, v29, v30
	v_add_u32_e32 v30, 32, v16
	v_cndmask_b32_e32 v14, v14, v32, vcc
	v_cmp_le_u32_e32 vcc, v30, v9
	s_waitcnt lgkmcnt(1)
	s_nop 0
	v_cndmask_b32_e32 v17, 0, v17, vcc
	s_waitcnt lgkmcnt(0)
	v_cndmask_b32_e32 v16, 0, v31, vcc
	v_lshl_add_u64 v[14:15], v[16:17], 0, v[14:15]
	s_or_b64 vcc, vcc, s[10:11]
	v_cndmask_b32_e32 v7, v7, v15, vcc
	v_cndmask_b32_e32 v6, v6, v14, vcc
	s_branch .LBB38_48
.LBB38_47:                              ;   in Loop: Header=BB38_48 Depth=1
	s_or_b64 exec, exec, s[8:9]
	v_cmp_eq_u16_sdwa s[8:9], v8, v18 src0_sel:BYTE_0 src1_sel:DWORD
	v_subrev_u32_e32 v9, 64, v12
	ds_bpermute_b32 v17, v19, v7
	v_and_b32_e32 v12, s9, v5
	v_or_b32_e32 v12, 0x80000000, v12
	v_ffbl_b32_e32 v12, v12
	v_add_u32_e32 v31, 32, v12
	ds_bpermute_b32 v12, v19, v6
	v_and_b32_e32 v16, s8, v4
	v_ffbl_b32_e32 v16, v16
	v_min_u32_e32 v31, v16, v31
	v_mov_b32_e32 v16, v13
	s_waitcnt lgkmcnt(0)
	v_lshl_add_u64 v[32:33], v[6:7], 0, v[12:13]
	v_lshl_add_u64 v[16:17], v[16:17], 0, v[32:33]
	v_cmp_le_u32_e32 vcc, v20, v31
	v_cmp_le_u32_e64 s[8:9], v22, v31
	v_cmp_le_u32_e64 s[10:11], v24, v31
	v_cndmask_b32_e32 v12, v6, v32, vcc
	v_cndmask_b32_e32 v17, v7, v17, vcc
	ds_bpermute_b32 v32, v21, v12
	ds_bpermute_b32 v33, v21, v17
	v_cndmask_b32_e32 v16, v6, v16, vcc
	v_cmp_le_u32_e64 s[12:13], v26, v31
	s_waitcnt lgkmcnt(0)
	v_lshl_add_u64 v[32:33], v[32:33], 0, v[16:17]
	v_cndmask_b32_e64 v12, v12, v32, s[8:9]
	v_cndmask_b32_e64 v17, v17, v33, s[8:9]
	ds_bpermute_b32 v68, v23, v12
	ds_bpermute_b32 v69, v23, v17
	v_cndmask_b32_e64 v16, v16, v32, s[8:9]
	s_or_b64 s[8:9], vcc, s[8:9]
	v_cmp_le_u32_e32 vcc, v28, v31
	s_or_b64 s[8:9], s[10:11], s[8:9]
	s_waitcnt lgkmcnt(0)
	v_lshl_add_u64 v[32:33], v[68:69], 0, v[16:17]
	v_cndmask_b32_e64 v12, v12, v32, s[10:11]
	v_cndmask_b32_e64 v17, v17, v33, s[10:11]
	ds_bpermute_b32 v68, v25, v12
	ds_bpermute_b32 v69, v25, v17
	v_cndmask_b32_e64 v16, v16, v32, s[10:11]
	s_or_b64 s[8:9], s[12:13], s[8:9]
	s_or_b64 s[8:9], vcc, s[8:9]
	s_waitcnt lgkmcnt(0)
	v_lshl_add_u64 v[32:33], v[68:69], 0, v[16:17]
	v_cndmask_b32_e64 v12, v12, v32, s[12:13]
	v_cndmask_b32_e64 v17, v17, v33, s[12:13]
	ds_bpermute_b32 v68, v27, v12
	ds_bpermute_b32 v69, v27, v17
	v_cndmask_b32_e64 v16, v16, v32, s[12:13]
	s_waitcnt lgkmcnt(0)
	v_lshl_add_u64 v[32:33], v[68:69], 0, v[16:17]
	v_cndmask_b32_e32 v12, v12, v32, vcc
	v_cndmask_b32_e32 v17, v17, v33, vcc
	ds_bpermute_b32 v33, v29, v17
	ds_bpermute_b32 v12, v29, v12
	v_cndmask_b32_e32 v16, v16, v32, vcc
	v_cmp_le_u32_e32 vcc, v30, v31
	s_waitcnt lgkmcnt(1)
	s_nop 0
	v_cndmask_b32_e32 v33, 0, v33, vcc
	s_waitcnt lgkmcnt(0)
	v_cndmask_b32_e32 v32, 0, v12, vcc
	v_lshl_add_u64 v[16:17], v[32:33], 0, v[16:17]
	s_or_b64 vcc, vcc, s[8:9]
	v_cndmask_b32_e32 v7, v7, v17, vcc
	v_cndmask_b32_e32 v6, v6, v16, vcc
	v_lshl_add_u64 v[6:7], v[6:7], 0, v[14:15]
	v_mov_b32_e32 v12, v9
.LBB38_48:                              ; =>This Loop Header: Depth=1
                                        ;     Child Loop BB38_51 Depth 2
	v_cmp_ne_u16_sdwa s[8:9], v8, v18 src0_sel:BYTE_0 src1_sel:DWORD
	v_mov_b64_e32 v[14:15], v[6:7]
	s_nop 0
	v_cndmask_b32_e64 v8, 0, 1, s[8:9]
	;;#ASMSTART
	;;#ASMEND
	s_nop 0
	v_cmp_ne_u32_e32 vcc, 0, v8
	s_cmp_lg_u64 vcc, exec
	s_cbranch_scc1 .LBB38_53
; %bb.49:                               ;   in Loop: Header=BB38_48 Depth=1
	v_lshl_add_u64 v[16:17], v[12:13], 4, s[20:21]
	;;#ASMSTART
	global_load_dwordx4 v[6:9], v[16:17] off sc1	
s_waitcnt vmcnt(0)
	;;#ASMEND
	s_nop 0
	v_cmp_eq_u16_sdwa s[10:11], v8, v13 src0_sel:BYTE_0 src1_sel:DWORD
	s_and_saveexec_b64 s[8:9], s[10:11]
	s_cbranch_execz .LBB38_47
; %bb.50:                               ;   in Loop: Header=BB38_48 Depth=1
	s_mov_b64 s[10:11], 0
.LBB38_51:                              ;   Parent Loop BB38_48 Depth=1
                                        ; =>  This Inner Loop Header: Depth=2
	;;#ASMSTART
	global_load_dwordx4 v[6:9], v[16:17] off sc1	
s_waitcnt vmcnt(0)
	;;#ASMEND
	s_nop 0
	v_cmp_ne_u16_sdwa s[12:13], v8, v13 src0_sel:BYTE_0 src1_sel:DWORD
	s_or_b64 s[10:11], s[12:13], s[10:11]
	s_andn2_b64 exec, exec, s[10:11]
	s_cbranch_execnz .LBB38_51
; %bb.52:                               ;   in Loop: Header=BB38_48 Depth=1
	s_or_b64 exec, exec, s[10:11]
	s_branch .LBB38_47
.LBB38_53:                              ;   in Loop: Header=BB38_48 Depth=1
                                        ; implicit-def: $vgpr6_vgpr7
                                        ; implicit-def: $vgpr8
	s_cbranch_execz .LBB38_48
; %bb.54:
	s_and_saveexec_b64 s[8:9], s[4:5]
	s_cbranch_execz .LBB38_56
; %bb.55:
	s_add_i32 s2, s2, 64
	s_mov_b32 s3, 0
	s_lshl_b64 s[2:3], s[2:3], 4
	s_add_u32 s2, s20, s2
	s_addc_u32 s3, s21, s3
	v_lshl_add_u64 v[2:3], v[14:15], 0, v[2:3]
	v_mov_b32_e32 v4, 2
	v_mov_b32_e32 v5, 0
	v_mov_b64_e32 v[6:7], s[2:3]
	;;#ASMSTART
	global_store_dwordx4 v[6:7], v[2:5] off sc1	
s_waitcnt vmcnt(0)
	;;#ASMEND
.LBB38_56:
	s_or_b64 exec, exec, s[8:9]
	s_and_b64 exec, exec, s[6:7]
	s_cbranch_execz .LBB38_58
; %bb.57:
	v_mov_b32_e32 v2, 0
	ds_write_b64 v2, v[14:15]
.LBB38_58:
	s_or_b64 exec, exec, s[22:23]
	v_mov_b32_e32 v2, 0
	s_waitcnt lgkmcnt(0)
	s_barrier
	ds_read_b64 v[2:3], v2
	v_lshl_add_u64 v[4:5], v[10:11], 0, v[34:35]
	s_waitcnt lgkmcnt(0)
	v_lshl_add_u64 v[2:3], v[4:5], 0, v[2:3]
	v_lshl_add_u64 v[4:5], v[2:3], 0, v[36:37]
	;; [unrolled: 1-line block ×15, first 2 shown]
	s_load_dwordx4 s[4:7], s[0:1], 0x38
	s_branch .LBB38_69
.LBB38_59:
                                        ; implicit-def: $vgpr2_vgpr3_vgpr4_vgpr5_vgpr6_vgpr7_vgpr8_vgpr9_vgpr10_vgpr11_vgpr12_vgpr13_vgpr14_vgpr15_vgpr16_vgpr17_vgpr18_vgpr19_vgpr20_vgpr21_vgpr22_vgpr23_vgpr24_vgpr25_vgpr26_vgpr27_vgpr28_vgpr29_vgpr30_vgpr31_vgpr32_vgpr33
	s_load_dwordx4 s[4:7], s[0:1], 0x38
	s_cbranch_execz .LBB38_69
; %bb.60:
	s_load_dword s8, s[0:1], 0x48
	v_cmp_eq_u32_e32 vcc, 0, v0
	v_cmp_ne_u32_e64 s[2:3], 0, v0
	s_waitcnt lgkmcnt(0)
	s_bitcmp1_b32 s8, 0
	s_cselect_b64 s[8:9], -1, 0
	s_and_b64 s[10:11], vcc, s[8:9]
	s_and_saveexec_b64 s[8:9], s[10:11]
	s_cbranch_execz .LBB38_62
; %bb.61:
	s_load_dwordx2 s[4:5], s[4:5], 0x0
	s_waitcnt lgkmcnt(0)
	v_lshl_add_u64 v[34:35], s[4:5], 0, v[34:35]
.LBB38_62:
	s_or_b64 exec, exec, s[8:9]
	v_lshl_add_u64 v[2:3], v[36:37], 0, v[34:35]
	v_lshl_add_u64 v[2:3], v[2:3], 0, v[38:39]
	;; [unrolled: 1-line block ×14, first 2 shown]
	v_add_lshl_u32 v1, v1, v0, 3
	v_cmp_gt_u32_e64 s[4:5], 64, v0
	ds_write_b64 v1, v[2:3]
	s_waitcnt lgkmcnt(0)
	s_barrier
	s_and_saveexec_b64 s[8:9], s[4:5]
	s_cbranch_execz .LBB38_64
; %bb.63:
	v_lshlrev_b32_e32 v1, 2, v0
	v_lshrrev_b32_e32 v4, 3, v0
	v_add_lshl_u32 v1, v4, v1, 3
	ds_read2_b64 v[4:7], v1 offset1:1
	ds_read2_b64 v[8:11], v1 offset0:2 offset1:3
	v_mbcnt_lo_u32_b32 v13, -1, 0
	v_mov_b32_e32 v12, 0
	v_mbcnt_hi_u32_b32 v20, -1, v13
	s_waitcnt lgkmcnt(1)
	v_lshl_add_u64 v[14:15], v[6:7], 0, v[4:5]
	s_waitcnt lgkmcnt(0)
	v_lshl_add_u64 v[14:15], v[14:15], 0, v[8:9]
	v_lshl_add_u64 v[14:15], v[14:15], 0, v[10:11]
	v_and_b32_e32 v21, 15, v20
	v_mov_b32_e32 v17, v12
	v_mov_b32_dpp v16, v14 row_shr:1 row_mask:0xf bank_mask:0xf
	v_mov_b32_dpp v13, v15 row_shr:1 row_mask:0xf bank_mask:0xf
	v_lshl_add_u64 v[16:17], v[14:15], 0, v[16:17]
	v_cmp_eq_u32_e64 s[4:5], 0, v21
	v_lshl_add_u64 v[18:19], v[12:13], 0, v[16:17]
	v_mov_b32_e32 v17, v12
	v_cndmask_b32_e64 v22, v16, v14, s[4:5]
	v_cndmask_b32_e64 v15, v19, v15, s[4:5]
	v_cndmask_b32_e64 v14, v18, v14, s[4:5]
	v_mov_b32_dpp v16, v22 row_shr:2 row_mask:0xf bank_mask:0xf
	v_mov_b32_dpp v13, v15 row_shr:2 row_mask:0xf bank_mask:0xf
	v_lshl_add_u64 v[16:17], v[14:15], 0, v[16:17]
	v_cmp_lt_u32_e64 s[4:5], 1, v21
	v_lshl_add_u64 v[18:19], v[16:17], 0, v[12:13]
	v_mov_b32_e32 v17, v12
	v_cndmask_b32_e64 v22, v22, v16, s[4:5]
	v_cndmask_b32_e64 v15, v15, v19, s[4:5]
	v_cndmask_b32_e64 v14, v14, v18, s[4:5]
	v_mov_b32_dpp v16, v22 row_shr:4 row_mask:0xf bank_mask:0xf
	v_mov_b32_dpp v13, v15 row_shr:4 row_mask:0xf bank_mask:0xf
	v_lshl_add_u64 v[16:17], v[14:15], 0, v[16:17]
	v_cmp_lt_u32_e64 s[4:5], 3, v21
	;; [unrolled: 9-line block ×3, first 2 shown]
	v_lshl_add_u64 v[18:19], v[16:17], 0, v[12:13]
	v_mov_b32_e32 v17, v12
	v_cndmask_b32_e64 v21, v22, v16, s[4:5]
	v_cndmask_b32_e64 v15, v15, v19, s[4:5]
	;; [unrolled: 1-line block ×3, first 2 shown]
	v_mov_b32_dpp v16, v21 row_bcast:15 row_mask:0xf bank_mask:0xf
	v_and_b32_e32 v22, 16, v20
	v_mov_b32_dpp v13, v15 row_bcast:15 row_mask:0xf bank_mask:0xf
	v_lshl_add_u64 v[16:17], v[14:15], 0, v[16:17]
	v_cmp_eq_u32_e64 s[4:5], 0, v22
	v_lshl_add_u64 v[18:19], v[16:17], 0, v[12:13]
	v_mov_b32_e32 v17, v12
	v_cndmask_b32_e64 v13, v16, v21, s[4:5]
	v_cndmask_b32_e64 v15, v19, v15, s[4:5]
	;; [unrolled: 1-line block ×3, first 2 shown]
	v_mov_b32_dpp v16, v13 row_bcast:31 row_mask:0xf bank_mask:0xf
	v_mov_b32_dpp v18, v15 row_bcast:31 row_mask:0xf bank_mask:0xf
	v_lshl_add_u64 v[16:17], v[14:15], 0, v[16:17]
	v_add_u32_e32 v14, v18, v17
	v_cmp_lt_u32_e64 s[4:5], 31, v20
	s_nop 1
	v_cndmask_b32_e64 v13, v13, v16, s[4:5]
	v_cndmask_b32_e64 v15, v15, v14, s[4:5]
	v_add_u32_e32 v14, -1, v20
	v_and_b32_e32 v16, 64, v20
	v_cmp_lt_i32_e64 s[4:5], v14, v16
	s_nop 1
	v_cndmask_b32_e64 v14, v14, v20, s[4:5]
	v_lshlrev_b32_e32 v16, 2, v14
	ds_bpermute_b32 v14, v16, v13
	ds_bpermute_b32 v13, v16, v15
	v_mov_b32_e32 v15, v12
	s_waitcnt lgkmcnt(1)
	v_lshl_add_u64 v[4:5], v[4:5], 0, v[14:15]
	s_waitcnt lgkmcnt(0)
	v_lshl_add_u64 v[4:5], v[4:5], 0, v[12:13]
	v_cndmask_b32_e32 v3, v5, v3, vcc
	v_cndmask_b32_e32 v2, v4, v2, vcc
	v_lshl_add_u64 v[4:5], v[2:3], 0, v[6:7]
	ds_write2_b64 v1, v[2:3], v[4:5] offset1:1
	v_lshl_add_u64 v[2:3], v[4:5], 0, v[8:9]
	v_lshl_add_u64 v[4:5], v[2:3], 0, v[10:11]
	ds_write2_b64 v1, v[2:3], v[4:5] offset0:2 offset1:3
.LBB38_64:
	s_or_b64 exec, exec, s[8:9]
	v_mov_b64_e32 v[2:3], 0
	s_waitcnt lgkmcnt(0)
	s_barrier
	s_and_saveexec_b64 s[4:5], s[2:3]
	s_cbranch_execz .LBB38_66
; %bb.65:
	v_add_u32_e32 v1, -1, v0
	v_lshrrev_b32_e32 v2, 5, v1
	v_add_lshl_u32 v1, v2, v1, 3
	ds_read_b64 v[2:3], v1
.LBB38_66:
	s_or_b64 exec, exec, s[4:5]
	s_waitcnt lgkmcnt(0)
	v_lshl_add_u64 v[2:3], v[2:3], 0, v[34:35]
	v_lshl_add_u64 v[4:5], v[2:3], 0, v[36:37]
	;; [unrolled: 1-line block ×15, first 2 shown]
	s_and_saveexec_b64 s[2:3], vcc
	s_cbranch_execz .LBB38_68
; %bb.67:
	s_add_u32 s4, s20, 0x400
	v_mov_b32_e32 v35, 0
	s_addc_u32 s5, s21, 0
	ds_read_b64 v[32:33], v35 offset:2096
	v_mov_b32_e32 v34, 2
	v_mov_b64_e32 v[36:37], s[4:5]
	s_waitcnt lgkmcnt(0)
	;;#ASMSTART
	global_store_dwordx4 v[36:37], v[32:35] off sc1	
s_waitcnt vmcnt(0)
	;;#ASMEND
.LBB38_68:
	s_or_b64 exec, exec, s[2:3]
.LBB38_69:
	s_add_u32 s2, s14, s18
	s_addc_u32 s3, s15, s19
	s_waitcnt lgkmcnt(0)
	s_mov_b64 s[4:5], -1
	s_and_b64 vcc, exec, s[16:17]
	s_barrier
	s_cbranch_vccz .LBB38_71
; %bb.70:
	v_mul_u32_u24_e32 v1, 0x78, v0
	s_movk_i32 s4, 0x78
	ds_write2_b64 v1, v[2:3], v[4:5] offset1:1
	ds_write2_b64 v1, v[6:7], v[8:9] offset0:2 offset1:3
	ds_write2_b64 v1, v[10:11], v[12:13] offset0:4 offset1:5
	;; [unrolled: 1-line block ×6, first 2 shown]
	ds_write_b64 v1, v[30:31] offset:112
	v_mul_i32_i24_e32 v1, 0xffffff90, v0
	v_mad_u32_u24 v1, v0, s4, v1
	v_mov_b32_e32 v63, 0
	s_waitcnt lgkmcnt(0)
	s_barrier
	ds_read2st64_b64 v[32:35], v1 offset1:4
	ds_read2st64_b64 v[36:39], v1 offset0:8 offset1:12
	ds_read2st64_b64 v[40:43], v1 offset0:16 offset1:20
	;; [unrolled: 1-line block ×6, first 2 shown]
	ds_read_b64 v[60:61], v1 offset:28672
	v_lshl_add_u64 v[64:65], s[2:3], 0, v[62:63]
	s_movk_i32 s4, 0x1000
	s_waitcnt lgkmcnt(7)
	global_store_dwordx2 v62, v[32:33], s[2:3]
	global_store_dwordx2 v62, v[34:35], s[2:3] offset:2048
	v_add_co_u32_e32 v32, vcc, s4, v64
	s_movk_i32 s4, 0x2000
	s_nop 0
	v_addc_co_u32_e32 v33, vcc, 0, v65, vcc
	v_add_co_u32_e32 v34, vcc, s4, v64
	s_movk_i32 s4, 0x3000
	s_nop 0
	v_addc_co_u32_e32 v35, vcc, 0, v65, vcc
	s_waitcnt lgkmcnt(6)
	global_store_dwordx2 v[34:35], v[36:37], off offset:-4096
	global_store_dwordx2 v[32:33], v[38:39], off offset:2048
	s_waitcnt lgkmcnt(5)
	global_store_dwordx2 v[34:35], v[40:41], off
	global_store_dwordx2 v[34:35], v[42:43], off offset:2048
	v_add_co_u32_e32 v32, vcc, s4, v64
	s_movk_i32 s4, 0x4000
	s_nop 0
	v_addc_co_u32_e32 v33, vcc, 0, v65, vcc
	v_add_co_u32_e32 v34, vcc, s4, v64
	s_movk_i32 s4, 0x5000
	s_nop 0
	v_addc_co_u32_e32 v35, vcc, 0, v65, vcc
	s_waitcnt lgkmcnt(4)
	global_store_dwordx2 v[34:35], v[44:45], off offset:-4096
	global_store_dwordx2 v[32:33], v[46:47], off offset:2048
	s_waitcnt lgkmcnt(3)
	global_store_dwordx2 v[34:35], v[48:49], off
	global_store_dwordx2 v[34:35], v[50:51], off offset:2048
	v_add_co_u32_e32 v32, vcc, s4, v64
	s_mov_b64 s[4:5], 0
	s_nop 0
	v_addc_co_u32_e32 v33, vcc, 0, v65, vcc
	s_waitcnt lgkmcnt(2)
	global_store_dwordx2 v[32:33], v[52:53], off
	global_store_dwordx2 v[32:33], v[54:55], off offset:2048
	v_add_co_u32_e32 v32, vcc, 0x6000, v64
	s_nop 1
	v_addc_co_u32_e32 v33, vcc, 0, v65, vcc
	s_waitcnt lgkmcnt(1)
	global_store_dwordx2 v[32:33], v[56:57], off
	global_store_dwordx2 v[32:33], v[58:59], off offset:2048
	v_add_co_u32_e32 v32, vcc, 0x7000, v64
	s_nop 1
	v_addc_co_u32_e32 v33, vcc, 0, v65, vcc
	s_waitcnt lgkmcnt(0)
	global_store_dwordx2 v[32:33], v[60:61], off
.LBB38_71:
	s_andn2_b64 vcc, exec, s[4:5]
	s_cbranch_vccnz .LBB38_157
; %bb.72:
	v_mul_u32_u24_e32 v1, 0x78, v0
	s_movk_i32 s4, 0x78
	ds_write2_b64 v1, v[2:3], v[4:5] offset1:1
	ds_write2_b64 v1, v[6:7], v[8:9] offset0:2 offset1:3
	ds_write2_b64 v1, v[10:11], v[12:13] offset0:4 offset1:5
	;; [unrolled: 1-line block ×6, first 2 shown]
	ds_write_b64 v1, v[30:31] offset:112
	v_mul_i32_i24_e32 v1, 0xffffff90, v0
	v_mad_u32_u24 v1, v0, s4, v1
	s_waitcnt lgkmcnt(0)
	s_barrier
	ds_read2st64_b64 v[6:9], v1 offset1:4
	ds_read2st64_b64 v[14:17], v1 offset0:8 offset1:12
	ds_read2st64_b64 v[10:13], v1 offset0:16 offset1:20
	;; [unrolled: 1-line block ×6, first 2 shown]
	ds_read_b64 v[30:31], v1 offset:28672
	v_mov_b32_e32 v63, 0
	v_lshl_add_u64 v[32:33], s[2:3], 0, v[62:63]
	v_cmp_gt_u32_e32 vcc, s24, v0
	s_and_saveexec_b64 s[2:3], vcc
	s_cbranch_execz .LBB38_74
; %bb.73:
	s_waitcnt lgkmcnt(7)
	global_store_dwordx2 v[32:33], v[6:7], off
.LBB38_74:
	s_or_b64 exec, exec, s[2:3]
	v_or_b32_e32 v1, 0x100, v0
	v_cmp_gt_u32_e32 vcc, s24, v1
	s_and_saveexec_b64 s[2:3], vcc
	s_cbranch_execz .LBB38_76
; %bb.75:
	s_waitcnt lgkmcnt(7)
	global_store_dwordx2 v[32:33], v[8:9], off offset:2048
.LBB38_76:
	s_or_b64 exec, exec, s[2:3]
	v_or_b32_e32 v1, 0x200, v0
	v_cmp_gt_u32_e32 vcc, s24, v1
	s_and_saveexec_b64 s[2:3], vcc
	s_cbranch_execz .LBB38_78
; %bb.77:
	v_add_co_u32_e32 v34, vcc, 0x1000, v32
	s_nop 1
	v_addc_co_u32_e32 v35, vcc, 0, v33, vcc
	s_waitcnt lgkmcnt(6)
	global_store_dwordx2 v[34:35], v[14:15], off
.LBB38_78:
	s_or_b64 exec, exec, s[2:3]
	v_or_b32_e32 v1, 0x300, v0
	v_cmp_gt_u32_e32 vcc, s24, v1
	s_and_saveexec_b64 s[2:3], vcc
	s_cbranch_execz .LBB38_80
; %bb.79:
	v_add_co_u32_e32 v34, vcc, 0x1000, v32
	s_nop 1
	v_addc_co_u32_e32 v35, vcc, 0, v33, vcc
	s_waitcnt lgkmcnt(6)
	global_store_dwordx2 v[34:35], v[16:17], off offset:2048
.LBB38_80:
	s_or_b64 exec, exec, s[2:3]
	v_or_b32_e32 v1, 0x400, v0
	v_cmp_gt_u32_e32 vcc, s24, v1
	s_and_saveexec_b64 s[2:3], vcc
	s_cbranch_execz .LBB38_82
; %bb.81:
	v_add_co_u32_e32 v34, vcc, 0x2000, v32
	s_nop 1
	v_addc_co_u32_e32 v35, vcc, 0, v33, vcc
	s_waitcnt lgkmcnt(5)
	global_store_dwordx2 v[34:35], v[10:11], off
.LBB38_82:
	s_or_b64 exec, exec, s[2:3]
	v_or_b32_e32 v1, 0x500, v0
	v_cmp_gt_u32_e32 vcc, s24, v1
	s_and_saveexec_b64 s[2:3], vcc
	s_cbranch_execz .LBB38_84
; %bb.83:
	v_add_co_u32_e32 v34, vcc, 0x2000, v32
	s_nop 1
	v_addc_co_u32_e32 v35, vcc, 0, v33, vcc
	s_waitcnt lgkmcnt(5)
	global_store_dwordx2 v[34:35], v[12:13], off offset:2048
.LBB38_84:
	;; [unrolled: 24-line block ×6, first 2 shown]
	s_or_b64 exec, exec, s[2:3]
	v_or_b32_e32 v1, 0xe00, v0
	v_cmp_gt_u32_e32 vcc, s24, v1
	s_and_saveexec_b64 s[2:3], vcc
	s_cbranch_execz .LBB38_102
; %bb.101:
	v_add_co_u32_e32 v32, vcc, 0x7000, v32
	s_nop 1
	v_addc_co_u32_e32 v33, vcc, 0, v33, vcc
	s_waitcnt lgkmcnt(0)
	global_store_dwordx2 v[32:33], v[30:31], off
.LBB38_102:
	s_or_b64 exec, exec, s[2:3]
	s_load_dword s0, s[0:1], 0x48
	s_waitcnt lgkmcnt(0)
	s_bfe_u32 s0, s0, 0x10008
	s_cmp_eq_u32 s0, 0
	s_cbranch_scc1 .LBB38_157
; %bb.103:
	s_add_u32 s0, s24, -1
	s_addc_u32 s1, s25, -1
	s_add_u32 s2, 0, 0x11108400
	s_addc_u32 s3, 0, 49
	s_add_i32 s3, s3, 0x111110e0
	s_mul_hi_u32 s9, s2, -15
	s_sub_i32 s9, s9, s2
	s_mul_i32 s10, s3, -15
	s_mul_i32 s4, s2, -15
	s_add_i32 s9, s9, s10
	s_mul_hi_u32 s5, s3, s4
	s_mul_i32 s8, s3, s4
	s_mul_i32 s11, s2, s9
	s_mul_hi_u32 s4, s2, s4
	s_mul_hi_u32 s10, s2, s9
	s_add_u32 s4, s4, s11
	s_addc_u32 s10, 0, s10
	s_add_u32 s4, s4, s8
	s_mul_hi_u32 s11, s3, s9
	s_addc_u32 s4, s10, s5
	s_addc_u32 s5, s11, 0
	s_mul_i32 s8, s3, s9
	s_add_u32 s4, s4, s8
	v_mov_b32_e32 v32, s4
	s_addc_u32 s5, 0, s5
	v_add_co_u32_e32 v32, vcc, s2, v32
	s_cmp_lg_u64 vcc, 0
	s_addc_u32 s2, s3, s5
	v_readfirstlane_b32 s5, v32
	s_mul_i32 s4, s0, s2
	s_mul_hi_u32 s8, s0, s5
	s_mul_hi_u32 s3, s0, s2
	s_add_u32 s4, s8, s4
	s_addc_u32 s3, 0, s3
	s_mul_hi_u32 s9, s1, s5
	s_mul_i32 s5, s1, s5
	s_add_u32 s4, s4, s5
	s_mul_hi_u32 s8, s1, s2
	s_addc_u32 s3, s3, s9
	s_addc_u32 s4, s8, 0
	s_mul_i32 s2, s1, s2
	s_add_u32 s2, s3, s2
	s_addc_u32 s3, 0, s4
	s_add_u32 s4, s2, 1
	s_addc_u32 s5, s3, 0
	s_add_u32 s8, s2, 2
	s_mul_i32 s10, s3, 15
	s_mul_hi_u32 s11, s2, 15
	s_addc_u32 s9, s3, 0
	s_add_i32 s11, s11, s10
	s_mul_i32 s10, s2, 15
	v_mov_b32_e32 v32, s10
	v_sub_co_u32_e32 v32, vcc, s0, v32
	s_cmp_lg_u64 vcc, 0
	s_subb_u32 s10, s1, s11
	v_subrev_co_u32_e32 v33, vcc, 15, v32
	s_cmp_lg_u64 vcc, 0
	s_subb_u32 s11, s10, 0
	v_readfirstlane_b32 s12, v33
	s_cmp_gt_u32 s12, 14
	s_cselect_b32 s12, -1, 0
	s_cmp_eq_u32 s11, 0
	s_cselect_b32 s11, s12, -1
	s_cmp_lg_u32 s11, 0
	s_cselect_b32 s4, s8, s4
	v_readfirstlane_b32 s8, v32
	s_cselect_b32 s5, s9, s5
	s_cmp_gt_u32 s8, 14
	s_cselect_b32 s8, -1, 0
	s_cmp_eq_u32 s10, 0
	s_cselect_b32 s8, s8, -1
	s_cmp_lg_u32 s8, 0
	v_mov_b32_e32 v1, v63
	s_cselect_b32 s3, s5, s3
	s_cselect_b32 s2, s4, s2
	v_cmp_eq_u64_e32 vcc, s[2:3], v[0:1]
	s_and_saveexec_b64 s[2:3], vcc
	s_cbranch_execz .LBB38_157
; %bb.104:
	v_mul_hi_u32_u24_e32 v1, 15, v0
	v_mov_b32_e32 v32, s1
	v_sub_co_u32_e32 v0, vcc, s0, v66
	s_nop 1
	v_subb_co_u32_e32 v1, vcc, v32, v1, vcc
	v_cmp_lt_i64_e32 vcc, 7, v[0:1]
	s_and_saveexec_b64 s[0:1], vcc
	s_xor_b64 s[0:1], exec, s[0:1]
	s_cbranch_execz .LBB38_130
; %bb.105:
	v_cmp_lt_i64_e32 vcc, 10, v[0:1]
	s_and_saveexec_b64 s[2:3], vcc
	s_xor_b64 s[2:3], exec, s[2:3]
	s_cbranch_execz .LBB38_119
; %bb.106:
	;; [unrolled: 5-line block ×4, first 2 shown]
	v_mov_b32_e32 v0, 0
	global_store_dwordx2 v0, v[30:31], s[6:7]
                                        ; implicit-def: $vgpr22_vgpr23_vgpr24_vgpr25
.LBB38_109:
	s_andn2_saveexec_b64 s[8:9], s[8:9]
	s_cbranch_execz .LBB38_111
; %bb.110:
	v_mov_b32_e32 v0, 0
	global_store_dwordx2 v0, v[24:25], s[6:7]
.LBB38_111:
	s_or_b64 exec, exec, s[8:9]
                                        ; implicit-def: $vgpr2_vgpr3_vgpr4_vgpr5
                                        ; implicit-def: $vgpr0_vgpr1
                                        ; implicit-def: $vgpr22_vgpr23_vgpr24_vgpr25
.LBB38_112:
	s_andn2_saveexec_b64 s[4:5], s[4:5]
	s_cbranch_execz .LBB38_118
; %bb.113:
	v_cmp_lt_i64_e32 vcc, 11, v[0:1]
	s_and_saveexec_b64 s[8:9], vcc
	s_xor_b64 s[8:9], exec, s[8:9]
	s_cbranch_execz .LBB38_115
; %bb.114:
	v_mov_b32_e32 v0, 0
	global_store_dwordx2 v0, v[22:23], s[6:7]
                                        ; implicit-def: $vgpr2_vgpr3_vgpr4_vgpr5
.LBB38_115:
	s_andn2_saveexec_b64 s[8:9], s[8:9]
	s_cbranch_execz .LBB38_117
; %bb.116:
	v_mov_b32_e32 v0, 0
	global_store_dwordx2 v0, v[4:5], s[6:7]
.LBB38_117:
	s_or_b64 exec, exec, s[8:9]
.LBB38_118:
	s_or_b64 exec, exec, s[4:5]
                                        ; implicit-def: $vgpr18_vgpr19_vgpr20_vgpr21
                                        ; implicit-def: $vgpr0_vgpr1
                                        ; implicit-def: $vgpr2_vgpr3_vgpr4_vgpr5
.LBB38_119:
	s_andn2_saveexec_b64 s[2:3], s[2:3]
	s_cbranch_execz .LBB38_129
; %bb.120:
	v_cmp_lt_i64_e32 vcc, 8, v[0:1]
	s_and_saveexec_b64 s[4:5], vcc
	s_xor_b64 s[4:5], exec, s[4:5]
	s_cbranch_execz .LBB38_126
; %bb.121:
	v_cmp_lt_i64_e32 vcc, 9, v[0:1]
	s_and_saveexec_b64 s[8:9], vcc
	s_xor_b64 s[8:9], exec, s[8:9]
	s_cbranch_execz .LBB38_123
; %bb.122:
	v_mov_b32_e32 v0, 0
	global_store_dwordx2 v0, v[2:3], s[6:7]
                                        ; implicit-def: $vgpr18_vgpr19_vgpr20_vgpr21
.LBB38_123:
	s_andn2_saveexec_b64 s[8:9], s[8:9]
	s_cbranch_execz .LBB38_125
; %bb.124:
	v_mov_b32_e32 v0, 0
	global_store_dwordx2 v0, v[20:21], s[6:7]
.LBB38_125:
	s_or_b64 exec, exec, s[8:9]
                                        ; implicit-def: $vgpr18_vgpr19_vgpr20_vgpr21
.LBB38_126:
	s_andn2_saveexec_b64 s[4:5], s[4:5]
	s_cbranch_execz .LBB38_128
; %bb.127:
	v_mov_b32_e32 v0, 0
	global_store_dwordx2 v0, v[18:19], s[6:7]
.LBB38_128:
	s_or_b64 exec, exec, s[4:5]
.LBB38_129:
	s_or_b64 exec, exec, s[2:3]
                                        ; implicit-def: $vgpr0_vgpr1
                                        ; implicit-def: $vgpr6_vgpr7_vgpr8_vgpr9
                                        ; implicit-def: $vgpr10_vgpr11_vgpr12_vgpr13
                                        ; implicit-def: $vgpr14_vgpr15_vgpr16_vgpr17
                                        ; implicit-def: $vgpr26_vgpr27_vgpr28_vgpr29
.LBB38_130:
	s_andn2_saveexec_b64 s[0:1], s[0:1]
	s_cbranch_execz .LBB38_157
; %bb.131:
	v_cmp_lt_i64_e32 vcc, 3, v[0:1]
	s_and_saveexec_b64 s[0:1], vcc
	s_xor_b64 s[0:1], exec, s[0:1]
	s_cbranch_execz .LBB38_145
; %bb.132:
	v_cmp_lt_i64_e32 vcc, 5, v[0:1]
	s_and_saveexec_b64 s[2:3], vcc
	s_xor_b64 s[2:3], exec, s[2:3]
	;; [unrolled: 5-line block ×3, first 2 shown]
	s_cbranch_execz .LBB38_135
; %bb.134:
	v_mov_b32_e32 v0, 0
	global_store_dwordx2 v0, v[28:29], s[6:7]
                                        ; implicit-def: $vgpr26_vgpr27_vgpr28_vgpr29
.LBB38_135:
	s_andn2_saveexec_b64 s[4:5], s[4:5]
	s_cbranch_execz .LBB38_137
; %bb.136:
	v_mov_b32_e32 v0, 0
	global_store_dwordx2 v0, v[26:27], s[6:7]
.LBB38_137:
	s_or_b64 exec, exec, s[4:5]
                                        ; implicit-def: $vgpr10_vgpr11_vgpr12_vgpr13
                                        ; implicit-def: $vgpr0_vgpr1
.LBB38_138:
	s_andn2_saveexec_b64 s[2:3], s[2:3]
	s_cbranch_execz .LBB38_144
; %bb.139:
	v_cmp_lt_i64_e32 vcc, 4, v[0:1]
	s_and_saveexec_b64 s[4:5], vcc
	s_xor_b64 s[4:5], exec, s[4:5]
	s_cbranch_execz .LBB38_141
; %bb.140:
	v_mov_b32_e32 v0, 0
	global_store_dwordx2 v0, v[12:13], s[6:7]
                                        ; implicit-def: $vgpr10_vgpr11_vgpr12_vgpr13
.LBB38_141:
	s_andn2_saveexec_b64 s[4:5], s[4:5]
	s_cbranch_execz .LBB38_143
; %bb.142:
	v_mov_b32_e32 v0, 0
	global_store_dwordx2 v0, v[10:11], s[6:7]
.LBB38_143:
	s_or_b64 exec, exec, s[4:5]
.LBB38_144:
	s_or_b64 exec, exec, s[2:3]
                                        ; implicit-def: $vgpr0_vgpr1
                                        ; implicit-def: $vgpr6_vgpr7_vgpr8_vgpr9
                                        ; implicit-def: $vgpr14_vgpr15_vgpr16_vgpr17
.LBB38_145:
	s_andn2_saveexec_b64 s[0:1], s[0:1]
	s_cbranch_execz .LBB38_157
; %bb.146:
	v_cmp_lt_i64_e32 vcc, 1, v[0:1]
	s_and_saveexec_b64 s[0:1], vcc
	s_xor_b64 s[0:1], exec, s[0:1]
	s_cbranch_execz .LBB38_152
; %bb.147:
	v_cmp_lt_i64_e32 vcc, 2, v[0:1]
	s_and_saveexec_b64 s[2:3], vcc
	s_xor_b64 s[2:3], exec, s[2:3]
	s_cbranch_execz .LBB38_149
; %bb.148:
	v_mov_b32_e32 v0, 0
	global_store_dwordx2 v0, v[16:17], s[6:7]
                                        ; implicit-def: $vgpr14_vgpr15_vgpr16_vgpr17
.LBB38_149:
	s_andn2_saveexec_b64 s[2:3], s[2:3]
	s_cbranch_execz .LBB38_151
; %bb.150:
	v_mov_b32_e32 v0, 0
	global_store_dwordx2 v0, v[14:15], s[6:7]
.LBB38_151:
	s_or_b64 exec, exec, s[2:3]
                                        ; implicit-def: $vgpr6_vgpr7_vgpr8_vgpr9
                                        ; implicit-def: $vgpr0_vgpr1
.LBB38_152:
	s_andn2_saveexec_b64 s[0:1], s[0:1]
	s_cbranch_execz .LBB38_157
; %bb.153:
	v_cmp_ne_u64_e32 vcc, 1, v[0:1]
	s_and_saveexec_b64 s[0:1], vcc
	s_xor_b64 s[0:1], exec, s[0:1]
	s_cbranch_execz .LBB38_155
; %bb.154:
	v_mov_b32_e32 v0, 0
	global_store_dwordx2 v0, v[6:7], s[6:7]
                                        ; implicit-def: $vgpr6_vgpr7_vgpr8_vgpr9
.LBB38_155:
	s_andn2_saveexec_b64 s[0:1], s[0:1]
	s_cbranch_execz .LBB38_157
; %bb.156:
	v_mov_b32_e32 v0, 0
	global_store_dwordx2 v0, v[8:9], s[6:7]
.LBB38_157:
	s_endpgm
	.section	.rodata,"a",@progbits
	.p2align	6, 0x0
	.amdhsa_kernel _ZN7rocprim17ROCPRIM_304000_NS6detail20lookback_scan_kernelILNS1_25lookback_scan_determinismE0ELb0ENS1_19wrapped_scan_configINS0_14default_configElEEPKlPlSt4plusIlEllNS1_19lookback_scan_stateIlLb0ELb1EEEEEvT2_T3_mT5_T4_T7_jPT6_SK_bb
		.amdhsa_group_segment_fixed_size 30720
		.amdhsa_private_segment_fixed_size 0
		.amdhsa_kernarg_size 76
		.amdhsa_user_sgpr_count 2
		.amdhsa_user_sgpr_dispatch_ptr 0
		.amdhsa_user_sgpr_queue_ptr 0
		.amdhsa_user_sgpr_kernarg_segment_ptr 1
		.amdhsa_user_sgpr_dispatch_id 0
		.amdhsa_user_sgpr_kernarg_preload_length 0
		.amdhsa_user_sgpr_kernarg_preload_offset 0
		.amdhsa_user_sgpr_private_segment_size 0
		.amdhsa_uses_dynamic_stack 0
		.amdhsa_enable_private_segment 0
		.amdhsa_system_sgpr_workgroup_id_x 1
		.amdhsa_system_sgpr_workgroup_id_y 0
		.amdhsa_system_sgpr_workgroup_id_z 0
		.amdhsa_system_sgpr_workgroup_info 0
		.amdhsa_system_vgpr_workitem_id 0
		.amdhsa_next_free_vgpr 70
		.amdhsa_next_free_sgpr 68
		.amdhsa_accum_offset 72
		.amdhsa_reserve_vcc 1
		.amdhsa_float_round_mode_32 0
		.amdhsa_float_round_mode_16_64 0
		.amdhsa_float_denorm_mode_32 3
		.amdhsa_float_denorm_mode_16_64 3
		.amdhsa_dx10_clamp 1
		.amdhsa_ieee_mode 1
		.amdhsa_fp16_overflow 0
		.amdhsa_tg_split 0
		.amdhsa_exception_fp_ieee_invalid_op 0
		.amdhsa_exception_fp_denorm_src 0
		.amdhsa_exception_fp_ieee_div_zero 0
		.amdhsa_exception_fp_ieee_overflow 0
		.amdhsa_exception_fp_ieee_underflow 0
		.amdhsa_exception_fp_ieee_inexact 0
		.amdhsa_exception_int_div_zero 0
	.end_amdhsa_kernel
	.section	.text._ZN7rocprim17ROCPRIM_304000_NS6detail20lookback_scan_kernelILNS1_25lookback_scan_determinismE0ELb0ENS1_19wrapped_scan_configINS0_14default_configElEEPKlPlSt4plusIlEllNS1_19lookback_scan_stateIlLb0ELb1EEEEEvT2_T3_mT5_T4_T7_jPT6_SK_bb,"axG",@progbits,_ZN7rocprim17ROCPRIM_304000_NS6detail20lookback_scan_kernelILNS1_25lookback_scan_determinismE0ELb0ENS1_19wrapped_scan_configINS0_14default_configElEEPKlPlSt4plusIlEllNS1_19lookback_scan_stateIlLb0ELb1EEEEEvT2_T3_mT5_T4_T7_jPT6_SK_bb,comdat
.Lfunc_end38:
	.size	_ZN7rocprim17ROCPRIM_304000_NS6detail20lookback_scan_kernelILNS1_25lookback_scan_determinismE0ELb0ENS1_19wrapped_scan_configINS0_14default_configElEEPKlPlSt4plusIlEllNS1_19lookback_scan_stateIlLb0ELb1EEEEEvT2_T3_mT5_T4_T7_jPT6_SK_bb, .Lfunc_end38-_ZN7rocprim17ROCPRIM_304000_NS6detail20lookback_scan_kernelILNS1_25lookback_scan_determinismE0ELb0ENS1_19wrapped_scan_configINS0_14default_configElEEPKlPlSt4plusIlEllNS1_19lookback_scan_stateIlLb0ELb1EEEEEvT2_T3_mT5_T4_T7_jPT6_SK_bb
                                        ; -- End function
	.section	.AMDGPU.csdata,"",@progbits
; Kernel info:
; codeLenInByte = 7500
; NumSgprs: 74
; NumVgprs: 70
; NumAgprs: 0
; TotalNumVgprs: 70
; ScratchSize: 0
; MemoryBound: 1
; FloatMode: 240
; IeeeMode: 1
; LDSByteSize: 30720 bytes/workgroup (compile time only)
; SGPRBlocks: 9
; VGPRBlocks: 8
; NumSGPRsForWavesPerEU: 74
; NumVGPRsForWavesPerEU: 70
; AccumOffset: 72
; Occupancy: 2
; WaveLimiterHint : 1
; COMPUTE_PGM_RSRC2:SCRATCH_EN: 0
; COMPUTE_PGM_RSRC2:USER_SGPR: 2
; COMPUTE_PGM_RSRC2:TRAP_HANDLER: 0
; COMPUTE_PGM_RSRC2:TGID_X_EN: 1
; COMPUTE_PGM_RSRC2:TGID_Y_EN: 0
; COMPUTE_PGM_RSRC2:TGID_Z_EN: 0
; COMPUTE_PGM_RSRC2:TIDIG_COMP_CNT: 0
; COMPUTE_PGM_RSRC3_GFX90A:ACCUM_OFFSET: 17
; COMPUTE_PGM_RSRC3_GFX90A:TG_SPLIT: 0
	.section	.text._ZN7rocprim17ROCPRIM_304000_NS6detail16transform_kernelINS1_24wrapped_transform_configINS0_14default_configElEElPlS6_NS0_8identityIlEEEEvT1_mT2_T3_,"axG",@progbits,_ZN7rocprim17ROCPRIM_304000_NS6detail16transform_kernelINS1_24wrapped_transform_configINS0_14default_configElEElPlS6_NS0_8identityIlEEEEvT1_mT2_T3_,comdat
	.protected	_ZN7rocprim17ROCPRIM_304000_NS6detail16transform_kernelINS1_24wrapped_transform_configINS0_14default_configElEElPlS6_NS0_8identityIlEEEEvT1_mT2_T3_ ; -- Begin function _ZN7rocprim17ROCPRIM_304000_NS6detail16transform_kernelINS1_24wrapped_transform_configINS0_14default_configElEElPlS6_NS0_8identityIlEEEEvT1_mT2_T3_
	.globl	_ZN7rocprim17ROCPRIM_304000_NS6detail16transform_kernelINS1_24wrapped_transform_configINS0_14default_configElEElPlS6_NS0_8identityIlEEEEvT1_mT2_T3_
	.p2align	8
	.type	_ZN7rocprim17ROCPRIM_304000_NS6detail16transform_kernelINS1_24wrapped_transform_configINS0_14default_configElEElPlS6_NS0_8identityIlEEEEvT1_mT2_T3_,@function
_ZN7rocprim17ROCPRIM_304000_NS6detail16transform_kernelINS1_24wrapped_transform_configINS0_14default_configElEElPlS6_NS0_8identityIlEEEEvT1_mT2_T3_: ; @_ZN7rocprim17ROCPRIM_304000_NS6detail16transform_kernelINS1_24wrapped_transform_configINS0_14default_configElEElPlS6_NS0_8identityIlEEEEvT1_mT2_T3_
; %bb.0:
	s_load_dword s3, s[0:1], 0x20
	s_load_dwordx4 s[4:7], s[0:1], 0x0
	s_load_dwordx2 s[8:9], s[0:1], 0x10
	s_lshl_b32 s0, s2, 9
	s_mov_b32 s1, 0
	s_waitcnt lgkmcnt(0)
	s_add_i32 s3, s3, -1
	s_lshl_b64 s[10:11], s[0:1], 3
	s_add_u32 s4, s4, s10
	s_addc_u32 s5, s5, s11
	v_mov_b32_e32 v7, 0
	v_lshlrev_b32_e32 v6, 3, v0
	s_cmp_lg_u32 s2, s3
	v_lshl_add_u64 v[8:9], s[4:5], 0, v[6:7]
	s_cbranch_scc0 .LBB39_2
; %bb.1:
	global_load_dwordx2 v[2:3], v[8:9], off
	global_load_dwordx2 v[4:5], v[8:9], off offset:2048
	s_add_u32 s2, s8, s10
	s_addc_u32 s3, s9, s11
	s_waitcnt vmcnt(1)
	global_store_dwordx2 v6, v[2:3], s[2:3]
	s_mov_b64 s[2:3], -1
	s_cbranch_execz .LBB39_3
	s_branch .LBB39_10
.LBB39_2:
	s_mov_b64 s[2:3], 0
                                        ; implicit-def: $vgpr4_vgpr5
.LBB39_3:
	s_sub_i32 s4, s6, s0
	v_cmp_gt_u32_e32 vcc, s4, v0
                                        ; implicit-def: $vgpr2_vgpr3_vgpr4_vgpr5
	s_and_saveexec_b64 s[0:1], vcc
	s_cbranch_execz .LBB39_5
; %bb.4:
	global_load_dwordx2 v[2:3], v[8:9], off
.LBB39_5:
	s_or_b64 exec, exec, s[0:1]
	v_or_b32_e32 v0, 0x100, v0
	v_cmp_gt_u32_e64 s[0:1], s4, v0
	s_and_saveexec_b64 s[4:5], s[0:1]
	s_cbranch_execnz .LBB39_13
; %bb.6:
	s_or_b64 exec, exec, s[4:5]
	s_and_saveexec_b64 s[4:5], vcc
	s_cbranch_execnz .LBB39_14
.LBB39_7:
	s_or_b64 exec, exec, s[4:5]
	s_and_saveexec_b64 s[4:5], s[0:1]
.LBB39_8:
	s_or_b64 s[2:3], s[2:3], exec
.LBB39_9:
	s_or_b64 exec, exec, s[4:5]
.LBB39_10:
	s_and_saveexec_b64 s[0:1], s[2:3]
	s_cbranch_execnz .LBB39_12
; %bb.11:
	s_endpgm
.LBB39_12:
	s_add_u32 s0, s8, s10
	s_addc_u32 s1, s9, s11
	s_waitcnt vmcnt(0)
	global_store_dwordx2 v6, v[4:5], s[0:1] offset:2048
	s_endpgm
.LBB39_13:
	global_load_dwordx2 v[4:5], v[8:9], off offset:2048
	s_or_b64 exec, exec, s[4:5]
	s_and_saveexec_b64 s[4:5], vcc
	s_cbranch_execz .LBB39_7
.LBB39_14:
	s_add_u32 s6, s8, s10
	s_addc_u32 s7, s9, s11
	s_waitcnt vmcnt(0)
	global_store_dwordx2 v6, v[2:3], s[6:7]
	s_or_b64 exec, exec, s[4:5]
	s_and_saveexec_b64 s[4:5], s[0:1]
	s_cbranch_execnz .LBB39_8
	s_branch .LBB39_9
	.section	.rodata,"a",@progbits
	.p2align	6, 0x0
	.amdhsa_kernel _ZN7rocprim17ROCPRIM_304000_NS6detail16transform_kernelINS1_24wrapped_transform_configINS0_14default_configElEElPlS6_NS0_8identityIlEEEEvT1_mT2_T3_
		.amdhsa_group_segment_fixed_size 0
		.amdhsa_private_segment_fixed_size 0
		.amdhsa_kernarg_size 288
		.amdhsa_user_sgpr_count 2
		.amdhsa_user_sgpr_dispatch_ptr 0
		.amdhsa_user_sgpr_queue_ptr 0
		.amdhsa_user_sgpr_kernarg_segment_ptr 1
		.amdhsa_user_sgpr_dispatch_id 0
		.amdhsa_user_sgpr_kernarg_preload_length 0
		.amdhsa_user_sgpr_kernarg_preload_offset 0
		.amdhsa_user_sgpr_private_segment_size 0
		.amdhsa_uses_dynamic_stack 0
		.amdhsa_enable_private_segment 0
		.amdhsa_system_sgpr_workgroup_id_x 1
		.amdhsa_system_sgpr_workgroup_id_y 0
		.amdhsa_system_sgpr_workgroup_id_z 0
		.amdhsa_system_sgpr_workgroup_info 0
		.amdhsa_system_vgpr_workitem_id 0
		.amdhsa_next_free_vgpr 10
		.amdhsa_next_free_sgpr 12
		.amdhsa_accum_offset 12
		.amdhsa_reserve_vcc 1
		.amdhsa_float_round_mode_32 0
		.amdhsa_float_round_mode_16_64 0
		.amdhsa_float_denorm_mode_32 3
		.amdhsa_float_denorm_mode_16_64 3
		.amdhsa_dx10_clamp 1
		.amdhsa_ieee_mode 1
		.amdhsa_fp16_overflow 0
		.amdhsa_tg_split 0
		.amdhsa_exception_fp_ieee_invalid_op 0
		.amdhsa_exception_fp_denorm_src 0
		.amdhsa_exception_fp_ieee_div_zero 0
		.amdhsa_exception_fp_ieee_overflow 0
		.amdhsa_exception_fp_ieee_underflow 0
		.amdhsa_exception_fp_ieee_inexact 0
		.amdhsa_exception_int_div_zero 0
	.end_amdhsa_kernel
	.section	.text._ZN7rocprim17ROCPRIM_304000_NS6detail16transform_kernelINS1_24wrapped_transform_configINS0_14default_configElEElPlS6_NS0_8identityIlEEEEvT1_mT2_T3_,"axG",@progbits,_ZN7rocprim17ROCPRIM_304000_NS6detail16transform_kernelINS1_24wrapped_transform_configINS0_14default_configElEElPlS6_NS0_8identityIlEEEEvT1_mT2_T3_,comdat
.Lfunc_end39:
	.size	_ZN7rocprim17ROCPRIM_304000_NS6detail16transform_kernelINS1_24wrapped_transform_configINS0_14default_configElEElPlS6_NS0_8identityIlEEEEvT1_mT2_T3_, .Lfunc_end39-_ZN7rocprim17ROCPRIM_304000_NS6detail16transform_kernelINS1_24wrapped_transform_configINS0_14default_configElEElPlS6_NS0_8identityIlEEEEvT1_mT2_T3_
                                        ; -- End function
	.section	.AMDGPU.csdata,"",@progbits
; Kernel info:
; codeLenInByte = 300
; NumSgprs: 18
; NumVgprs: 10
; NumAgprs: 0
; TotalNumVgprs: 10
; ScratchSize: 0
; MemoryBound: 1
; FloatMode: 240
; IeeeMode: 1
; LDSByteSize: 0 bytes/workgroup (compile time only)
; SGPRBlocks: 2
; VGPRBlocks: 1
; NumSGPRsForWavesPerEU: 18
; NumVGPRsForWavesPerEU: 10
; AccumOffset: 12
; Occupancy: 8
; WaveLimiterHint : 1
; COMPUTE_PGM_RSRC2:SCRATCH_EN: 0
; COMPUTE_PGM_RSRC2:USER_SGPR: 2
; COMPUTE_PGM_RSRC2:TRAP_HANDLER: 0
; COMPUTE_PGM_RSRC2:TGID_X_EN: 1
; COMPUTE_PGM_RSRC2:TGID_Y_EN: 0
; COMPUTE_PGM_RSRC2:TGID_Z_EN: 0
; COMPUTE_PGM_RSRC2:TIDIG_COMP_CNT: 0
; COMPUTE_PGM_RSRC3_GFX90A:ACCUM_OFFSET: 2
; COMPUTE_PGM_RSRC3_GFX90A:TG_SPLIT: 0
	.section	.text._ZN7rocprim17ROCPRIM_304000_NS6detail18single_scan_kernelILb0ENS1_19wrapped_scan_configINS0_14default_configElEEPKlPlSt4plusIlEllEEvT1_mT4_T2_T3_,"axG",@progbits,_ZN7rocprim17ROCPRIM_304000_NS6detail18single_scan_kernelILb0ENS1_19wrapped_scan_configINS0_14default_configElEEPKlPlSt4plusIlEllEEvT1_mT4_T2_T3_,comdat
	.protected	_ZN7rocprim17ROCPRIM_304000_NS6detail18single_scan_kernelILb0ENS1_19wrapped_scan_configINS0_14default_configElEEPKlPlSt4plusIlEllEEvT1_mT4_T2_T3_ ; -- Begin function _ZN7rocprim17ROCPRIM_304000_NS6detail18single_scan_kernelILb0ENS1_19wrapped_scan_configINS0_14default_configElEEPKlPlSt4plusIlEllEEvT1_mT4_T2_T3_
	.globl	_ZN7rocprim17ROCPRIM_304000_NS6detail18single_scan_kernelILb0ENS1_19wrapped_scan_configINS0_14default_configElEEPKlPlSt4plusIlEllEEvT1_mT4_T2_T3_
	.p2align	8
	.type	_ZN7rocprim17ROCPRIM_304000_NS6detail18single_scan_kernelILb0ENS1_19wrapped_scan_configINS0_14default_configElEEPKlPlSt4plusIlEllEEvT1_mT4_T2_T3_,@function
_ZN7rocprim17ROCPRIM_304000_NS6detail18single_scan_kernelILb0ENS1_19wrapped_scan_configINS0_14default_configElEEPKlPlSt4plusIlEllEEvT1_mT4_T2_T3_: ; @_ZN7rocprim17ROCPRIM_304000_NS6detail18single_scan_kernelILb0ENS1_19wrapped_scan_configINS0_14default_configElEEPKlPlSt4plusIlEllEEvT1_mT4_T2_T3_
; %bb.0:
	s_load_dwordx4 s[28:31], s[0:1], 0x0
	v_mov_b32_e32 v35, 0
	v_lshlrev_b32_e32 v34, 3, v0
	s_waitcnt lgkmcnt(0)
	s_load_dwordx2 s[36:37], s[28:29], 0x0
	v_lshl_add_u64 v[36:37], s[28:29], 0, v[34:35]
	v_cmp_gt_u32_e64 s[2:3], s30, v0
	s_waitcnt lgkmcnt(0)
	s_mov_b32 s38, s36
	s_mov_b32 s39, s37
	;; [unrolled: 1-line block ×28, first 2 shown]
	v_mov_b64_e32 v[2:3], s[36:37]
	v_mov_b64_e32 v[4:5], s[38:39]
	;; [unrolled: 1-line block ×16, first 2 shown]
	s_and_saveexec_b64 s[4:5], s[2:3]
	s_cbranch_execz .LBB40_2
; %bb.1:
	global_load_dwordx2 v[2:3], v[36:37], off
	v_mov_b32_e32 v4, s36
	v_mov_b32_e32 v5, s37
	;; [unrolled: 1-line block ×28, first 2 shown]
.LBB40_2:
	s_or_b64 exec, exec, s[4:5]
	v_or_b32_e32 v1, 0x100, v0
	v_cmp_gt_u32_e64 s[4:5], s30, v1
	s_and_saveexec_b64 s[6:7], s[4:5]
	s_cbranch_execz .LBB40_4
; %bb.3:
	global_load_dwordx2 v[4:5], v[36:37], off offset:2048
.LBB40_4:
	s_or_b64 exec, exec, s[6:7]
	v_or_b32_e32 v1, 0x200, v0
	v_cmp_gt_u32_e64 s[6:7], s30, v1
	s_and_saveexec_b64 s[8:9], s[6:7]
	s_cbranch_execz .LBB40_6
; %bb.5:
	v_add_co_u32_e32 v6, vcc, 0x1000, v36
	s_nop 1
	v_addc_co_u32_e32 v7, vcc, 0, v37, vcc
	global_load_dwordx2 v[6:7], v[6:7], off
.LBB40_6:
	s_or_b64 exec, exec, s[8:9]
	v_or_b32_e32 v1, 0x300, v0
	v_cmp_gt_u32_e64 s[8:9], s30, v1
	s_and_saveexec_b64 s[10:11], s[8:9]
	s_cbranch_execz .LBB40_8
; %bb.7:
	v_add_co_u32_e32 v8, vcc, 0x1000, v36
	s_nop 1
	v_addc_co_u32_e32 v9, vcc, 0, v37, vcc
	global_load_dwordx2 v[8:9], v[8:9], off offset:2048
.LBB40_8:
	s_or_b64 exec, exec, s[10:11]
	v_or_b32_e32 v1, 0x400, v0
	v_cmp_gt_u32_e64 s[10:11], s30, v1
	s_and_saveexec_b64 s[12:13], s[10:11]
	s_cbranch_execz .LBB40_10
; %bb.9:
	v_add_co_u32_e32 v10, vcc, 0x2000, v36
	s_nop 1
	v_addc_co_u32_e32 v11, vcc, 0, v37, vcc
	global_load_dwordx2 v[10:11], v[10:11], off
.LBB40_10:
	s_or_b64 exec, exec, s[12:13]
	v_or_b32_e32 v1, 0x500, v0
	v_cmp_gt_u32_e64 s[12:13], s30, v1
	s_and_saveexec_b64 s[14:15], s[12:13]
	s_cbranch_execz .LBB40_12
; %bb.11:
	v_add_co_u32_e32 v12, vcc, 0x2000, v36
	s_nop 1
	v_addc_co_u32_e32 v13, vcc, 0, v37, vcc
	global_load_dwordx2 v[12:13], v[12:13], off offset:2048
.LBB40_12:
	;; [unrolled: 22-line block ×6, first 2 shown]
	s_or_b64 exec, exec, s[34:35]
	v_or_b32_e32 v1, 0xe00, v0
	v_cmp_gt_u32_e64 s[30:31], s30, v1
	s_and_saveexec_b64 s[34:35], s[30:31]
	s_cbranch_execz .LBB40_30
; %bb.29:
	v_add_co_u32_e32 v30, vcc, 0x7000, v36
	s_nop 1
	v_addc_co_u32_e32 v31, vcc, 0, v37, vcc
	global_load_dwordx2 v[30:31], v[30:31], off
.LBB40_30:
	s_or_b64 exec, exec, s[34:35]
	s_movk_i32 s33, 0x70
	v_mad_u32_u24 v1, v0, s33, v34
	s_waitcnt vmcnt(0)
	ds_write2st64_b64 v34, v[2:3], v[4:5] offset1:4
	ds_write2st64_b64 v34, v[6:7], v[8:9] offset0:8 offset1:12
	ds_write2st64_b64 v34, v[10:11], v[12:13] offset0:16 offset1:20
	;; [unrolled: 1-line block ×6, first 2 shown]
	ds_write_b64 v34, v[30:31] offset:28672
	s_waitcnt lgkmcnt(0)
	s_barrier
	ds_read2_b64 v[2:5], v1 offset1:1
	ds_read2_b64 v[6:9], v1 offset0:2 offset1:3
	ds_read2_b64 v[10:13], v1 offset0:4 offset1:5
	;; [unrolled: 1-line block ×6, first 2 shown]
	ds_read_b64 v[30:31], v1 offset:112
	s_waitcnt lgkmcnt(7)
	v_lshl_add_u64 v[32:33], v[4:5], 0, v[2:3]
	s_waitcnt lgkmcnt(6)
	v_lshl_add_u64 v[32:33], v[32:33], 0, v[6:7]
	v_lshl_add_u64 v[32:33], v[32:33], 0, v[8:9]
	s_waitcnt lgkmcnt(5)
	v_lshl_add_u64 v[32:33], v[32:33], 0, v[10:11]
	;; [unrolled: 3-line block ×6, first 2 shown]
	v_lshrrev_b32_e32 v1, 2, v0
	v_lshl_add_u64 v[32:33], v[32:33], 0, v[28:29]
	v_and_b32_e32 v1, 56, v1
	s_waitcnt lgkmcnt(0)
	v_lshl_add_u64 v[32:33], v[32:33], 0, v[30:31]
	v_add_u32_e32 v1, v34, v1
	v_cmp_gt_u32_e32 vcc, 64, v0
	s_barrier
	ds_write_b64 v1, v[32:33]
	s_waitcnt lgkmcnt(0)
	s_barrier
	s_and_saveexec_b64 s[34:35], vcc
	s_cbranch_execz .LBB40_32
; %bb.31:
	v_lshlrev_b32_e32 v1, 2, v0
	v_lshrrev_b32_e32 v35, 3, v0
	v_add_lshl_u32 v1, v35, v1, 3
	ds_read2_b64 v[36:39], v1 offset1:1
	ds_read2_b64 v[40:43], v1 offset0:2 offset1:3
	v_mbcnt_lo_u32_b32 v35, -1, 0
	v_mov_b32_e32 v44, 0
	v_mbcnt_hi_u32_b32 v35, -1, v35
	s_waitcnt lgkmcnt(1)
	v_lshl_add_u64 v[46:47], v[38:39], 0, v[36:37]
	s_waitcnt lgkmcnt(0)
	v_lshl_add_u64 v[46:47], v[46:47], 0, v[40:41]
	v_lshl_add_u64 v[46:47], v[46:47], 0, v[42:43]
	v_and_b32_e32 v52, 15, v35
	v_mov_b32_e32 v49, v44
	v_mov_b32_dpp v48, v46 row_shr:1 row_mask:0xf bank_mask:0xf
	v_mov_b32_dpp v45, v47 row_shr:1 row_mask:0xf bank_mask:0xf
	v_lshl_add_u64 v[48:49], v[46:47], 0, v[48:49]
	v_cmp_eq_u32_e32 vcc, 0, v52
	v_lshl_add_u64 v[50:51], v[44:45], 0, v[48:49]
	v_mov_b32_e32 v49, v44
	v_cndmask_b32_e32 v53, v48, v46, vcc
	v_cndmask_b32_e32 v47, v51, v47, vcc
	v_cndmask_b32_e32 v46, v50, v46, vcc
	v_mov_b32_dpp v48, v53 row_shr:2 row_mask:0xf bank_mask:0xf
	v_mov_b32_dpp v45, v47 row_shr:2 row_mask:0xf bank_mask:0xf
	v_lshl_add_u64 v[48:49], v[46:47], 0, v[48:49]
	v_cmp_lt_u32_e32 vcc, 1, v52
	v_lshl_add_u64 v[50:51], v[48:49], 0, v[44:45]
	v_mov_b32_e32 v49, v44
	v_cndmask_b32_e32 v53, v53, v48, vcc
	v_cndmask_b32_e32 v47, v47, v51, vcc
	v_cndmask_b32_e32 v46, v46, v50, vcc
	v_mov_b32_dpp v48, v53 row_shr:4 row_mask:0xf bank_mask:0xf
	v_mov_b32_dpp v45, v47 row_shr:4 row_mask:0xf bank_mask:0xf
	v_lshl_add_u64 v[48:49], v[46:47], 0, v[48:49]
	v_cmp_lt_u32_e32 vcc, 3, v52
	;; [unrolled: 9-line block ×3, first 2 shown]
	v_lshl_add_u64 v[50:51], v[48:49], 0, v[44:45]
	v_mov_b32_e32 v49, v44
	v_cndmask_b32_e32 v52, v53, v48, vcc
	v_cndmask_b32_e32 v47, v47, v51, vcc
	;; [unrolled: 1-line block ×3, first 2 shown]
	v_mov_b32_dpp v48, v52 row_bcast:15 row_mask:0xf bank_mask:0xf
	v_and_b32_e32 v53, 16, v35
	v_mov_b32_dpp v45, v47 row_bcast:15 row_mask:0xf bank_mask:0xf
	v_lshl_add_u64 v[48:49], v[46:47], 0, v[48:49]
	v_cmp_eq_u32_e32 vcc, 0, v53
	v_lshl_add_u64 v[50:51], v[48:49], 0, v[44:45]
	v_mov_b32_e32 v49, v44
	v_cndmask_b32_e32 v45, v48, v52, vcc
	v_cndmask_b32_e32 v47, v51, v47, vcc
	;; [unrolled: 1-line block ×3, first 2 shown]
	v_mov_b32_dpp v48, v45 row_bcast:31 row_mask:0xf bank_mask:0xf
	v_mov_b32_dpp v50, v47 row_bcast:31 row_mask:0xf bank_mask:0xf
	v_lshl_add_u64 v[48:49], v[46:47], 0, v[48:49]
	v_add_u32_e32 v46, v50, v49
	v_cmp_lt_u32_e32 vcc, 31, v35
	s_nop 1
	v_cndmask_b32_e32 v45, v45, v48, vcc
	v_cndmask_b32_e32 v47, v47, v46, vcc
	v_add_u32_e32 v46, -1, v35
	v_and_b32_e32 v48, 64, v35
	v_cmp_lt_i32_e32 vcc, v46, v48
	s_nop 1
	v_cndmask_b32_e32 v35, v46, v35, vcc
	v_lshlrev_b32_e32 v35, 2, v35
	ds_bpermute_b32 v46, v35, v45
	ds_bpermute_b32 v45, v35, v47
	v_mov_b32_e32 v47, v44
	v_cmp_eq_u32_e32 vcc, 0, v0
	s_waitcnt lgkmcnt(1)
	v_lshl_add_u64 v[36:37], v[36:37], 0, v[46:47]
	s_waitcnt lgkmcnt(0)
	v_lshl_add_u64 v[36:37], v[36:37], 0, v[44:45]
	v_cndmask_b32_e32 v33, v37, v33, vcc
	v_cndmask_b32_e32 v32, v36, v32, vcc
	v_lshl_add_u64 v[36:37], v[32:33], 0, v[38:39]
	ds_write2_b64 v1, v[32:33], v[36:37] offset1:1
	v_lshl_add_u64 v[32:33], v[36:37], 0, v[40:41]
	v_lshl_add_u64 v[36:37], v[32:33], 0, v[42:43]
	ds_write2_b64 v1, v[32:33], v[36:37] offset0:2 offset1:3
.LBB40_32:
	s_or_b64 exec, exec, s[34:35]
	v_mul_u32_u24_e32 v1, 0x70, v0
	v_cmp_ne_u32_e32 vcc, 0, v0
	v_mov_b64_e32 v[32:33], 0
	s_waitcnt lgkmcnt(0)
	s_barrier
	s_and_saveexec_b64 s[34:35], vcc
	s_cbranch_execz .LBB40_34
; %bb.33:
	v_add_u32_e32 v0, -1, v0
	v_lshrrev_b32_e32 v32, 5, v0
	v_add_lshl_u32 v0, v32, v0, 3
	ds_read_b64 v[32:33], v0
.LBB40_34:
	s_or_b64 exec, exec, s[34:35]
	s_waitcnt lgkmcnt(0)
	v_lshl_add_u64 v[2:3], v[32:33], 0, v[2:3]
	v_lshl_add_u64 v[4:5], v[2:3], 0, v[4:5]
	;; [unrolled: 1-line block ×14, first 2 shown]
	v_add_u32_e32 v0, v34, v1
	v_lshl_add_u64 v[30:31], v[28:29], 0, v[30:31]
	s_barrier
	ds_write2_b64 v0, v[2:3], v[4:5] offset1:1
	ds_write2_b64 v0, v[6:7], v[8:9] offset0:2 offset1:3
	ds_write2_b64 v0, v[10:11], v[12:13] offset0:4 offset1:5
	;; [unrolled: 1-line block ×6, first 2 shown]
	ds_write_b64 v0, v[30:31] offset:112
	s_waitcnt lgkmcnt(0)
	s_barrier
	ds_read2st64_b64 v[24:27], v34 offset0:4 offset1:8
	ds_read2st64_b64 v[20:23], v34 offset0:12 offset1:16
	;; [unrolled: 1-line block ×7, first 2 shown]
	s_load_dwordx2 s[0:1], s[0:1], 0x18
	v_mov_b32_e32 v35, 0
	s_waitcnt lgkmcnt(0)
	v_lshl_add_u64 v[28:29], s[0:1], 0, v[34:35]
	s_and_saveexec_b64 s[0:1], s[2:3]
	s_cbranch_execnz .LBB40_50
; %bb.35:
	s_or_b64 exec, exec, s[0:1]
	s_and_saveexec_b64 s[0:1], s[4:5]
	s_cbranch_execnz .LBB40_51
.LBB40_36:
	s_or_b64 exec, exec, s[0:1]
	s_and_saveexec_b64 s[0:1], s[6:7]
	s_cbranch_execnz .LBB40_52
.LBB40_37:
	s_or_b64 exec, exec, s[0:1]
	s_and_saveexec_b64 s[0:1], s[8:9]
	s_cbranch_execnz .LBB40_53
.LBB40_38:
	s_or_b64 exec, exec, s[0:1]
	s_and_saveexec_b64 s[0:1], s[10:11]
	s_cbranch_execnz .LBB40_54
.LBB40_39:
	s_or_b64 exec, exec, s[0:1]
	s_and_saveexec_b64 s[0:1], s[12:13]
	s_cbranch_execnz .LBB40_55
.LBB40_40:
	s_or_b64 exec, exec, s[0:1]
	s_and_saveexec_b64 s[0:1], s[14:15]
	s_cbranch_execnz .LBB40_56
.LBB40_41:
	s_or_b64 exec, exec, s[0:1]
	s_and_saveexec_b64 s[0:1], s[16:17]
	s_cbranch_execnz .LBB40_57
.LBB40_42:
	s_or_b64 exec, exec, s[0:1]
	s_and_saveexec_b64 s[0:1], s[18:19]
	s_cbranch_execnz .LBB40_58
.LBB40_43:
	s_or_b64 exec, exec, s[0:1]
	s_and_saveexec_b64 s[0:1], s[20:21]
	s_cbranch_execnz .LBB40_59
.LBB40_44:
	s_or_b64 exec, exec, s[0:1]
	s_and_saveexec_b64 s[0:1], s[22:23]
	s_cbranch_execnz .LBB40_60
.LBB40_45:
	s_or_b64 exec, exec, s[0:1]
	s_and_saveexec_b64 s[0:1], s[24:25]
	s_cbranch_execnz .LBB40_61
.LBB40_46:
	s_or_b64 exec, exec, s[0:1]
	s_and_saveexec_b64 s[0:1], s[26:27]
	s_cbranch_execnz .LBB40_62
.LBB40_47:
	s_or_b64 exec, exec, s[0:1]
	s_and_saveexec_b64 s[0:1], s[28:29]
	s_cbranch_execnz .LBB40_63
.LBB40_48:
	s_or_b64 exec, exec, s[0:1]
	s_and_saveexec_b64 s[0:1], s[30:31]
	s_cbranch_execnz .LBB40_64
.LBB40_49:
	s_endpgm
.LBB40_50:
	ds_read_b64 v[30:31], v34
	s_waitcnt lgkmcnt(0)
	global_store_dwordx2 v[28:29], v[30:31], off
	s_or_b64 exec, exec, s[0:1]
	s_and_saveexec_b64 s[0:1], s[4:5]
	s_cbranch_execz .LBB40_36
.LBB40_51:
	global_store_dwordx2 v[28:29], v[24:25], off offset:2048
	s_or_b64 exec, exec, s[0:1]
	s_and_saveexec_b64 s[0:1], s[6:7]
	s_cbranch_execz .LBB40_37
.LBB40_52:
	v_add_co_u32_e32 v24, vcc, 0x1000, v28
	s_nop 1
	v_addc_co_u32_e32 v25, vcc, 0, v29, vcc
	global_store_dwordx2 v[24:25], v[26:27], off
	s_or_b64 exec, exec, s[0:1]
	s_and_saveexec_b64 s[0:1], s[8:9]
	s_cbranch_execz .LBB40_38
.LBB40_53:
	v_add_co_u32_e32 v24, vcc, 0x1000, v28
	s_nop 1
	v_addc_co_u32_e32 v25, vcc, 0, v29, vcc
	global_store_dwordx2 v[24:25], v[20:21], off offset:2048
	s_or_b64 exec, exec, s[0:1]
	s_and_saveexec_b64 s[0:1], s[10:11]
	s_cbranch_execz .LBB40_39
.LBB40_54:
	v_add_co_u32_e32 v20, vcc, 0x2000, v28
	s_nop 1
	v_addc_co_u32_e32 v21, vcc, 0, v29, vcc
	global_store_dwordx2 v[20:21], v[22:23], off
	s_or_b64 exec, exec, s[0:1]
	s_and_saveexec_b64 s[0:1], s[12:13]
	s_cbranch_execz .LBB40_40
.LBB40_55:
	v_add_co_u32_e32 v20, vcc, 0x2000, v28
	s_nop 1
	v_addc_co_u32_e32 v21, vcc, 0, v29, vcc
	global_store_dwordx2 v[20:21], v[16:17], off offset:2048
	s_or_b64 exec, exec, s[0:1]
	s_and_saveexec_b64 s[0:1], s[14:15]
	s_cbranch_execz .LBB40_41
.LBB40_56:
	v_add_co_u32_e32 v16, vcc, 0x3000, v28
	s_nop 1
	v_addc_co_u32_e32 v17, vcc, 0, v29, vcc
	global_store_dwordx2 v[16:17], v[18:19], off
	s_or_b64 exec, exec, s[0:1]
	s_and_saveexec_b64 s[0:1], s[16:17]
	s_cbranch_execz .LBB40_42
.LBB40_57:
	v_add_co_u32_e32 v16, vcc, 0x3000, v28
	s_nop 1
	v_addc_co_u32_e32 v17, vcc, 0, v29, vcc
	global_store_dwordx2 v[16:17], v[12:13], off offset:2048
	s_or_b64 exec, exec, s[0:1]
	s_and_saveexec_b64 s[0:1], s[18:19]
	s_cbranch_execz .LBB40_43
.LBB40_58:
	v_add_co_u32_e32 v12, vcc, 0x4000, v28
	s_nop 1
	v_addc_co_u32_e32 v13, vcc, 0, v29, vcc
	global_store_dwordx2 v[12:13], v[14:15], off
	s_or_b64 exec, exec, s[0:1]
	s_and_saveexec_b64 s[0:1], s[20:21]
	s_cbranch_execz .LBB40_44
.LBB40_59:
	v_add_co_u32_e32 v12, vcc, 0x4000, v28
	s_nop 1
	v_addc_co_u32_e32 v13, vcc, 0, v29, vcc
	global_store_dwordx2 v[12:13], v[8:9], off offset:2048
	s_or_b64 exec, exec, s[0:1]
	s_and_saveexec_b64 s[0:1], s[22:23]
	s_cbranch_execz .LBB40_45
.LBB40_60:
	v_add_co_u32_e32 v8, vcc, 0x5000, v28
	s_nop 1
	v_addc_co_u32_e32 v9, vcc, 0, v29, vcc
	global_store_dwordx2 v[8:9], v[10:11], off
	s_or_b64 exec, exec, s[0:1]
	s_and_saveexec_b64 s[0:1], s[24:25]
	s_cbranch_execz .LBB40_46
.LBB40_61:
	v_add_co_u32_e32 v8, vcc, 0x5000, v28
	s_nop 1
	v_addc_co_u32_e32 v9, vcc, 0, v29, vcc
	global_store_dwordx2 v[8:9], v[4:5], off offset:2048
	s_or_b64 exec, exec, s[0:1]
	s_and_saveexec_b64 s[0:1], s[26:27]
	s_cbranch_execz .LBB40_47
.LBB40_62:
	v_add_co_u32_e32 v4, vcc, 0x6000, v28
	s_nop 1
	v_addc_co_u32_e32 v5, vcc, 0, v29, vcc
	global_store_dwordx2 v[4:5], v[6:7], off
	s_or_b64 exec, exec, s[0:1]
	s_and_saveexec_b64 s[0:1], s[28:29]
	s_cbranch_execz .LBB40_48
.LBB40_63:
	v_add_co_u32_e32 v4, vcc, 0x6000, v28
	s_nop 1
	v_addc_co_u32_e32 v5, vcc, 0, v29, vcc
	global_store_dwordx2 v[4:5], v[0:1], off offset:2048
	s_or_b64 exec, exec, s[0:1]
	s_and_saveexec_b64 s[0:1], s[30:31]
	s_cbranch_execz .LBB40_49
.LBB40_64:
	v_add_co_u32_e32 v0, vcc, 0x7000, v28
	s_nop 1
	v_addc_co_u32_e32 v1, vcc, 0, v29, vcc
	global_store_dwordx2 v[0:1], v[2:3], off
	s_endpgm
	.section	.rodata,"a",@progbits
	.p2align	6, 0x0
	.amdhsa_kernel _ZN7rocprim17ROCPRIM_304000_NS6detail18single_scan_kernelILb0ENS1_19wrapped_scan_configINS0_14default_configElEEPKlPlSt4plusIlEllEEvT1_mT4_T2_T3_
		.amdhsa_group_segment_fixed_size 30720
		.amdhsa_private_segment_fixed_size 0
		.amdhsa_kernarg_size 36
		.amdhsa_user_sgpr_count 2
		.amdhsa_user_sgpr_dispatch_ptr 0
		.amdhsa_user_sgpr_queue_ptr 0
		.amdhsa_user_sgpr_kernarg_segment_ptr 1
		.amdhsa_user_sgpr_dispatch_id 0
		.amdhsa_user_sgpr_kernarg_preload_length 0
		.amdhsa_user_sgpr_kernarg_preload_offset 0
		.amdhsa_user_sgpr_private_segment_size 0
		.amdhsa_uses_dynamic_stack 0
		.amdhsa_enable_private_segment 0
		.amdhsa_system_sgpr_workgroup_id_x 1
		.amdhsa_system_sgpr_workgroup_id_y 0
		.amdhsa_system_sgpr_workgroup_id_z 0
		.amdhsa_system_sgpr_workgroup_info 0
		.amdhsa_system_vgpr_workitem_id 0
		.amdhsa_next_free_vgpr 54
		.amdhsa_next_free_sgpr 68
		.amdhsa_accum_offset 56
		.amdhsa_reserve_vcc 1
		.amdhsa_float_round_mode_32 0
		.amdhsa_float_round_mode_16_64 0
		.amdhsa_float_denorm_mode_32 3
		.amdhsa_float_denorm_mode_16_64 3
		.amdhsa_dx10_clamp 1
		.amdhsa_ieee_mode 1
		.amdhsa_fp16_overflow 0
		.amdhsa_tg_split 0
		.amdhsa_exception_fp_ieee_invalid_op 0
		.amdhsa_exception_fp_denorm_src 0
		.amdhsa_exception_fp_ieee_div_zero 0
		.amdhsa_exception_fp_ieee_overflow 0
		.amdhsa_exception_fp_ieee_underflow 0
		.amdhsa_exception_fp_ieee_inexact 0
		.amdhsa_exception_int_div_zero 0
	.end_amdhsa_kernel
	.section	.text._ZN7rocprim17ROCPRIM_304000_NS6detail18single_scan_kernelILb0ENS1_19wrapped_scan_configINS0_14default_configElEEPKlPlSt4plusIlEllEEvT1_mT4_T2_T3_,"axG",@progbits,_ZN7rocprim17ROCPRIM_304000_NS6detail18single_scan_kernelILb0ENS1_19wrapped_scan_configINS0_14default_configElEEPKlPlSt4plusIlEllEEvT1_mT4_T2_T3_,comdat
.Lfunc_end40:
	.size	_ZN7rocprim17ROCPRIM_304000_NS6detail18single_scan_kernelILb0ENS1_19wrapped_scan_configINS0_14default_configElEEPKlPlSt4plusIlEllEEvT1_mT4_T2_T3_, .Lfunc_end40-_ZN7rocprim17ROCPRIM_304000_NS6detail18single_scan_kernelILb0ENS1_19wrapped_scan_configINS0_14default_configElEEPKlPlSt4plusIlEllEEvT1_mT4_T2_T3_
                                        ; -- End function
	.section	.AMDGPU.csdata,"",@progbits
; Kernel info:
; codeLenInByte = 2968
; NumSgprs: 74
; NumVgprs: 54
; NumAgprs: 0
; TotalNumVgprs: 54
; ScratchSize: 0
; MemoryBound: 1
; FloatMode: 240
; IeeeMode: 1
; LDSByteSize: 30720 bytes/workgroup (compile time only)
; SGPRBlocks: 9
; VGPRBlocks: 6
; NumSGPRsForWavesPerEU: 74
; NumVGPRsForWavesPerEU: 54
; AccumOffset: 56
; Occupancy: 2
; WaveLimiterHint : 0
; COMPUTE_PGM_RSRC2:SCRATCH_EN: 0
; COMPUTE_PGM_RSRC2:USER_SGPR: 2
; COMPUTE_PGM_RSRC2:TRAP_HANDLER: 0
; COMPUTE_PGM_RSRC2:TGID_X_EN: 1
; COMPUTE_PGM_RSRC2:TGID_Y_EN: 0
; COMPUTE_PGM_RSRC2:TGID_Z_EN: 0
; COMPUTE_PGM_RSRC2:TIDIG_COMP_CNT: 0
; COMPUTE_PGM_RSRC3_GFX90A:ACCUM_OFFSET: 13
; COMPUTE_PGM_RSRC3_GFX90A:TG_SPLIT: 0
	.section	.text._ZN2at6native32tensor_kernel_scan_innermost_dimIlSt4plusIlEEEvPT_PKS4_jjjS4_T0_,"axG",@progbits,_ZN2at6native32tensor_kernel_scan_innermost_dimIlSt4plusIlEEEvPT_PKS4_jjjS4_T0_,comdat
	.protected	_ZN2at6native32tensor_kernel_scan_innermost_dimIlSt4plusIlEEEvPT_PKS4_jjjS4_T0_ ; -- Begin function _ZN2at6native32tensor_kernel_scan_innermost_dimIlSt4plusIlEEEvPT_PKS4_jjjS4_T0_
	.globl	_ZN2at6native32tensor_kernel_scan_innermost_dimIlSt4plusIlEEEvPT_PKS4_jjjS4_T0_
	.p2align	8
	.type	_ZN2at6native32tensor_kernel_scan_innermost_dimIlSt4plusIlEEEvPT_PKS4_jjjS4_T0_,@function
_ZN2at6native32tensor_kernel_scan_innermost_dimIlSt4plusIlEEEvPT_PKS4_jjjS4_T0_: ; @_ZN2at6native32tensor_kernel_scan_innermost_dimIlSt4plusIlEEEvPT_PKS4_jjjS4_T0_
; %bb.0:
	s_load_dwordx8 s[12:19], s[0:1], 0x0
	s_load_dwordx2 s[20:21], s[0:1], 0x20
	v_bfe_u32 v2, v0, 10, 10
	s_waitcnt lgkmcnt(0)
	s_lshl_b32 s3, 2, s18
	v_mul_lo_u32 v1, s3, v2
	s_mul_hi_u32 s4, s16, s17
	s_mov_b32 s22, s16
	v_lshl_add_u32 v18, v1, 3, 0
	s_cmp_lg_u32 s4, 0
	s_mov_b64 s[4:5], -1
	s_cbranch_scc1 .LBB41_26
; %bb.1:
	s_load_dword s6, s[0:1], 0x3c
	s_add_u32 s4, s0, 48
	s_addc_u32 s5, s1, 0
	s_waitcnt lgkmcnt(0)
	s_lshr_b32 s6, s6, 16
	s_mul_i32 s19, s2, s6
	s_cmp_ge_u32 s19, s16
	s_cbranch_scc1 .LBB41_25
; %bb.2:
	s_load_dword s28, s[4:5], 0x0
	s_lshl_b32 s23, 1, s18
	s_cmp_lg_u32 s17, 0
	v_and_b32_e32 v1, 0x3ff, v0
	s_cselect_b64 s[4:5], -1, 0
	v_lshl_add_u32 v3, v1, 3, v18
	v_add_u32_e32 v17, -8, v18
	v_cndmask_b32_e64 v4, 0, 1, s[4:5]
	v_lshl_add_u32 v16, s23, 3, v3
	v_cmp_eq_u32_e64 s[8:9], 0, v1
	v_lshl_add_u32 v19, s3, 3, v17
	s_waitcnt lgkmcnt(0)
	s_mul_i32 s28, s28, s6
	s_add_i32 s29, s18, 1
	v_cmp_ne_u32_e64 s[4:5], 1, v4
	v_mov_b32_e32 v5, 0
	s_branch .LBB41_4
.LBB41_3:                               ;   in Loop: Header=BB41_4 Depth=1
	s_add_i32 s19, s19, s28
	s_cmp_ge_u32 s19, s16
	s_cbranch_scc1 .LBB41_25
.LBB41_4:                               ; =>This Loop Header: Depth=1
                                        ;     Child Loop BB41_7 Depth 2
                                        ;       Child Loop BB41_16 Depth 3
	s_and_b64 vcc, exec, s[4:5]
	s_cbranch_vccnz .LBB41_3
; %bb.5:                                ;   in Loop: Header=BB41_4 Depth=1
	v_add_u32_e32 v10, s19, v2
	v_mul_lo_u32 v4, v10, s17
	v_lshlrev_b64 v[8:9], 3, v[4:5]
	v_lshl_add_u64 v[6:7], s[14:15], 0, v[8:9]
	v_lshl_add_u64 v[8:9], s[12:13], 0, v[8:9]
	v_cmp_gt_u32_e32 vcc, s16, v10
	v_cmp_le_u32_e64 s[6:7], s16, v10
	s_mov_b32 s30, 0
	v_mov_b64_e32 v[12:13], s[20:21]
	s_branch .LBB41_7
.LBB41_6:                               ;   in Loop: Header=BB41_7 Depth=2
	s_or_b64 exec, exec, s[24:25]
	ds_read_b64 v[12:13], v19
	s_add_i32 s30, s30, s3
	s_cmp_ge_u32 s30, s17
	s_waitcnt lgkmcnt(0)
	s_barrier
	s_cbranch_scc1 .LBB41_3
.LBB41_7:                               ;   Parent Loop BB41_4 Depth=1
                                        ; =>  This Loop Header: Depth=2
                                        ;       Child Loop BB41_16 Depth 3
	v_add_u32_e32 v4, s30, v1
	v_add_u32_e32 v10, s23, v4
	s_and_saveexec_b64 s[24:25], vcc
	s_cbranch_execz .LBB41_14
; %bb.8:                                ;   in Loop: Header=BB41_7 Depth=2
	v_cmp_gt_u32_e64 s[10:11], s17, v4
	v_mov_b64_e32 v[14:15], s[20:21]
	s_and_saveexec_b64 s[26:27], s[10:11]
	s_cbranch_execz .LBB41_10
; %bb.9:                                ;   in Loop: Header=BB41_7 Depth=2
	v_lshl_add_u64 v[14:15], v[4:5], 3, v[6:7]
	global_load_dwordx2 v[14:15], v[14:15], off
.LBB41_10:                              ;   in Loop: Header=BB41_7 Depth=2
	s_or_b64 exec, exec, s[26:27]
	s_waitcnt vmcnt(0)
	ds_write_b64 v3, v[14:15]
	v_cmp_gt_u32_e64 s[10:11], s17, v10
	v_mov_b64_e32 v[14:15], s[20:21]
	s_and_saveexec_b64 s[26:27], s[10:11]
	s_cbranch_execz .LBB41_12
; %bb.11:                               ;   in Loop: Header=BB41_7 Depth=2
	v_mov_b32_e32 v11, v5
	v_lshl_add_u64 v[14:15], v[10:11], 3, v[6:7]
	global_load_dwordx2 v[14:15], v[14:15], off
.LBB41_12:                              ;   in Loop: Header=BB41_7 Depth=2
	s_or_b64 exec, exec, s[26:27]
	s_waitcnt vmcnt(0)
	ds_write_b64 v16, v[14:15]
	s_and_b64 exec, exec, s[8:9]
	s_cbranch_execz .LBB41_14
; %bb.13:                               ;   in Loop: Header=BB41_7 Depth=2
	ds_read_b64 v[14:15], v18
	s_waitcnt lgkmcnt(0)
	v_lshl_add_u64 v[12:13], v[14:15], 0, v[12:13]
	ds_write_b64 v18, v[12:13]
.LBB41_14:                              ;   in Loop: Header=BB41_7 Depth=2
	s_or_b64 exec, exec, s[24:25]
	s_mov_b64 s[24:25], 0
	v_mov_b32_e32 v11, 0
	s_waitcnt lgkmcnt(0)
	s_barrier
	s_branch .LBB41_16
.LBB41_15:                              ;   in Loop: Header=BB41_16 Depth=3
	s_or_b64 exec, exec, s[10:11]
	v_cmp_eq_u32_e64 s[10:11], s29, v11
	s_or_b64 s[24:25], s[10:11], s[24:25]
	s_waitcnt lgkmcnt(0)
	s_barrier
	s_andn2_b64 exec, exec, s[24:25]
	s_cbranch_execz .LBB41_20
.LBB41_16:                              ;   Parent Loop BB41_4 Depth=1
                                        ;     Parent Loop BB41_7 Depth=2
                                        ; =>    This Inner Loop Header: Depth=3
	v_add_u32_e32 v12, 1, v11
	s_and_saveexec_b64 s[10:11], s[6:7]
	s_xor_b64 s[10:11], exec, s[10:11]
; %bb.17:                               ;   in Loop: Header=BB41_16 Depth=3
	v_add_u32_e32 v11, 1, v11
                                        ; implicit-def: $vgpr12
; %bb.18:                               ;   in Loop: Header=BB41_16 Depth=3
	s_andn2_saveexec_b64 s[10:11], s[10:11]
	s_cbranch_execz .LBB41_15
; %bb.19:                               ;   in Loop: Header=BB41_16 Depth=3
	v_lshlrev_b32_e64 v13, v11, 1
	v_lshrrev_b32_e32 v14, v11, v1
	v_bfm_b32 v11, v11, 0
	v_lshl_or_b32 v13, v14, v12, v13
	v_and_b32_e32 v11, v11, v1
	v_lshlrev_b32_e32 v13, 3, v13
	v_lshlrev_b32_e32 v11, 3, v11
	v_add3_u32 v11, v18, v13, v11
	v_add_u32_e32 v13, v17, v13
	ds_read_b64 v[14:15], v11
	ds_read_b64 v[20:21], v13
	s_waitcnt lgkmcnt(0)
	v_lshl_add_u64 v[14:15], v[20:21], 0, v[14:15]
	ds_write_b64 v11, v[14:15]
	v_mov_b32_e32 v11, v12
	s_branch .LBB41_15
.LBB41_20:                              ;   in Loop: Header=BB41_7 Depth=2
	s_or_b64 exec, exec, s[24:25]
	s_and_saveexec_b64 s[24:25], vcc
	s_cbranch_execz .LBB41_6
; %bb.21:                               ;   in Loop: Header=BB41_7 Depth=2
	v_cmp_gt_u32_e64 s[10:11], s17, v4
	s_and_saveexec_b64 s[26:27], s[10:11]
	s_cbranch_execz .LBB41_23
; %bb.22:                               ;   in Loop: Header=BB41_7 Depth=2
	ds_read_b64 v[12:13], v3
	v_lshl_add_u64 v[14:15], v[4:5], 3, v[8:9]
	s_waitcnt lgkmcnt(0)
	global_store_dwordx2 v[14:15], v[12:13], off
.LBB41_23:                              ;   in Loop: Header=BB41_7 Depth=2
	s_or_b64 exec, exec, s[26:27]
	v_cmp_gt_u32_e64 s[10:11], s17, v10
	s_and_b64 exec, exec, s[10:11]
	s_cbranch_execz .LBB41_6
; %bb.24:                               ;   in Loop: Header=BB41_7 Depth=2
	ds_read_b64 v[12:13], v16
	v_mov_b32_e32 v11, v5
	v_lshl_add_u64 v[10:11], v[10:11], 3, v[8:9]
	s_waitcnt lgkmcnt(0)
	global_store_dwordx2 v[10:11], v[12:13], off
	s_branch .LBB41_6
.LBB41_25:
	s_mov_b64 s[4:5], 0
.LBB41_26:
	s_andn2_b64 vcc, exec, s[4:5]
	s_cbranch_vccnz .LBB41_53
; %bb.27:
	s_load_dword s3, s[0:1], 0x3c
	s_add_u32 s4, s0, 48
	s_mov_b32 s23, 0
	s_addc_u32 s5, s1, 0
	v_mov_b64_e32 v[4:5], s[22:23]
	s_waitcnt lgkmcnt(0)
	s_lshr_b32 s0, s3, 16
	s_mul_hi_u32 s9, s0, s2
	s_mul_i32 s8, s0, s2
	v_cmp_ge_u64_e32 vcc, s[8:9], v[4:5]
	s_cbranch_vccnz .LBB41_53
; %bb.28:
	s_lshl_b32 s10, 1, s18
	s_load_dword s4, s[4:5], 0x0
	s_and_b32 s6, 0xffff, s0
	s_ashr_i32 s11, s10, 31
	s_cmp_lg_u32 s17, 0
	s_mov_b32 s24, s17
	v_and_b32_e32 v0, 0x3ff, v0
	s_cselect_b64 s[2:3], -1, 0
	s_lshl_b64 s[16:17], s[10:11], 1
	v_mov_b32_e32 v3, 0
	v_lshl_add_u32 v19, v0, 3, v18
	s_lshl_b32 s5, s16, 3
	v_cndmask_b32_e64 v4, 0, 1, s[2:3]
	s_mov_b32 s25, s23
	v_mov_b32_e32 v1, v3
	v_lshl_add_u32 v20, s10, 3, v19
	v_cmp_eq_u32_e64 s[0:1], 0, v0
	v_add3_u32 v21, v18, s5, -8
	s_waitcnt lgkmcnt(0)
	s_mul_i32 s33, s4, s6
	s_add_i32 s34, s18, 1
	v_cmp_ne_u32_e64 s[2:3], 1, v4
	v_mov_b64_e32 v[4:5], s[22:23]
	s_branch .LBB41_30
.LBB41_29:                              ;   in Loop: Header=BB41_30 Depth=1
	s_add_u32 s8, s8, s33
	s_addc_u32 s9, s9, 0
	v_cmp_ge_u64_e32 vcc, s[8:9], v[4:5]
	s_cbranch_vccnz .LBB41_53
.LBB41_30:                              ; =>This Loop Header: Depth=1
                                        ;     Child Loop BB41_33 Depth 2
                                        ;       Child Loop BB41_43 Depth 3
	s_and_b64 vcc, exec, s[2:3]
	s_cbranch_vccnz .LBB41_29
; %bb.31:                               ;   in Loop: Header=BB41_30 Depth=1
	v_lshl_add_u64 v[10:11], s[8:9], 0, v[2:3]
	v_mad_u64_u32 v[6:7], s[4:5], v10, s24, 0
	v_mov_b32_e32 v8, v7
	v_mad_u64_u32 v[8:9], s[4:5], v11, s24, v[8:9]
	v_mov_b32_e32 v7, v8
	v_lshlrev_b64 v[8:9], 3, v[6:7]
	v_lshl_add_u64 v[6:7], s[14:15], 0, v[8:9]
	v_lshl_add_u64 v[8:9], s[12:13], 0, v[8:9]
	v_cmp_gt_u64_e64 s[4:5], s[22:23], v[10:11]
	v_cmp_le_u64_e64 s[6:7], s[22:23], v[10:11]
	s_mov_b64 s[18:19], 0
	v_mov_b64_e32 v[14:15], s[20:21]
	s_branch .LBB41_33
.LBB41_32:                              ;   in Loop: Header=BB41_33 Depth=2
	s_or_b64 exec, exec, s[26:27]
	ds_read_b64 v[14:15], v21
	s_add_u32 s18, s18, s16
	s_addc_u32 s19, s19, s17
	v_mov_b64_e32 v[10:11], s[24:25]
	v_cmp_ge_u64_e32 vcc, s[18:19], v[10:11]
	s_waitcnt lgkmcnt(0)
	s_barrier
	s_cbranch_vccnz .LBB41_29
.LBB41_33:                              ;   Parent Loop BB41_30 Depth=1
                                        ; =>  This Loop Header: Depth=2
                                        ;       Child Loop BB41_43 Depth 3
	v_lshl_add_u64 v[12:13], s[18:19], 0, v[0:1]
	v_lshl_add_u64 v[10:11], v[12:13], 0, s[10:11]
	s_and_saveexec_b64 s[26:27], s[4:5]
	s_cbranch_execz .LBB41_40
; %bb.34:                               ;   in Loop: Header=BB41_33 Depth=2
	v_cmp_gt_u64_e32 vcc, s[24:25], v[12:13]
	v_mov_b64_e32 v[16:17], s[20:21]
	s_and_saveexec_b64 s[28:29], vcc
	s_cbranch_execz .LBB41_36
; %bb.35:                               ;   in Loop: Header=BB41_33 Depth=2
	v_lshl_add_u64 v[16:17], v[12:13], 3, v[6:7]
	global_load_dwordx2 v[16:17], v[16:17], off
.LBB41_36:                              ;   in Loop: Header=BB41_33 Depth=2
	s_or_b64 exec, exec, s[28:29]
	s_waitcnt vmcnt(0)
	ds_write_b64 v19, v[16:17]
	v_cmp_gt_u64_e32 vcc, s[24:25], v[10:11]
	v_mov_b64_e32 v[16:17], s[20:21]
	s_and_saveexec_b64 s[28:29], vcc
	s_cbranch_execz .LBB41_38
; %bb.37:                               ;   in Loop: Header=BB41_33 Depth=2
	v_lshl_add_u64 v[16:17], v[10:11], 3, v[6:7]
	global_load_dwordx2 v[16:17], v[16:17], off
.LBB41_38:                              ;   in Loop: Header=BB41_33 Depth=2
	s_or_b64 exec, exec, s[28:29]
	s_waitcnt vmcnt(0)
	ds_write_b64 v20, v[16:17]
	s_and_b64 exec, exec, s[0:1]
	s_cbranch_execz .LBB41_40
; %bb.39:                               ;   in Loop: Header=BB41_33 Depth=2
	ds_read_b64 v[16:17], v18
	s_waitcnt lgkmcnt(0)
	v_lshl_add_u64 v[14:15], v[16:17], 0, v[14:15]
	ds_write_b64 v18, v[14:15]
.LBB41_40:                              ;   in Loop: Header=BB41_33 Depth=2
	s_or_b64 exec, exec, s[26:27]
	s_mov_b64 s[26:27], 0
	v_mov_b32_e32 v23, 0
	s_waitcnt lgkmcnt(0)
	s_barrier
	s_branch .LBB41_43
.LBB41_41:                              ;   in Loop: Header=BB41_43 Depth=3
	s_or_b64 exec, exec, s[30:31]
	v_lshrrev_b32_e32 v15, v23, v0
	v_lshl_or_b32 v14, v15, v22, v14
	v_lshl_add_u32 v14, v14, 3, v18
	v_lshl_add_u32 v23, v16, 3, v14
	v_add_u32_e32 v16, -8, v14
	ds_read_b64 v[14:15], v23
	ds_read_b64 v[16:17], v16
	s_waitcnt lgkmcnt(0)
	v_lshl_add_u64 v[14:15], v[16:17], 0, v[14:15]
	ds_write_b64 v23, v[14:15]
.LBB41_42:                              ;   in Loop: Header=BB41_43 Depth=3
	s_or_b64 exec, exec, s[28:29]
	v_cmp_eq_u32_e32 vcc, s34, v22
	s_or_b64 s[26:27], vcc, s[26:27]
	v_mov_b32_e32 v23, v22
	s_waitcnt lgkmcnt(0)
	s_barrier
	s_andn2_b64 exec, exec, s[26:27]
	s_cbranch_execz .LBB41_48
.LBB41_43:                              ;   Parent Loop BB41_30 Depth=1
                                        ;     Parent Loop BB41_33 Depth=2
                                        ; =>    This Inner Loop Header: Depth=3
	v_add_u32_e32 v22, 1, v23
	s_and_saveexec_b64 s[28:29], s[6:7]
	s_xor_b64 s[28:29], exec, s[28:29]
; %bb.44:                               ;   in Loop: Header=BB41_43 Depth=3
	v_add_u32_e32 v22, 1, v23
                                        ; implicit-def: $vgpr23
; %bb.45:                               ;   in Loop: Header=BB41_43 Depth=3
	s_andn2_saveexec_b64 s[28:29], s[28:29]
	s_cbranch_execz .LBB41_42
; %bb.46:                               ;   in Loop: Header=BB41_43 Depth=3
	v_lshlrev_b32_e64 v14, v23, 1
	v_ashrrev_i32_e32 v15, 31, v14
	v_cmp_ge_u64_e32 vcc, v[0:1], v[14:15]
	v_mov_b64_e32 v[16:17], v[0:1]
	s_and_saveexec_b64 s[30:31], vcc
	s_cbranch_execz .LBB41_41
; %bb.47:                               ;   in Loop: Header=BB41_43 Depth=3
	v_cvt_f32_u32_e32 v15, v14
	v_sub_u32_e32 v16, 0, v14
	v_rcp_iflag_f32_e32 v15, v15
	s_nop 0
	v_mul_f32_e32 v15, 0x4f7ffffe, v15
	v_cvt_u32_f32_e32 v15, v15
	v_mul_lo_u32 v16, v16, v15
	v_mul_hi_u32 v16, v15, v16
	v_add_u32_e32 v15, v15, v16
	v_mul_hi_u32 v15, v0, v15
	v_mul_lo_u32 v15, v15, v14
	v_sub_u32_e32 v15, v0, v15
	v_sub_u32_e32 v16, v15, v14
	v_cmp_ge_u32_e32 vcc, v15, v14
	s_nop 1
	v_cndmask_b32_e32 v15, v15, v16, vcc
	v_sub_u32_e32 v16, v15, v14
	v_cmp_ge_u32_e32 vcc, v15, v14
	s_nop 1
	v_cndmask_b32_e32 v16, v15, v16, vcc
	s_branch .LBB41_41
.LBB41_48:                              ;   in Loop: Header=BB41_33 Depth=2
	s_or_b64 exec, exec, s[26:27]
	s_and_saveexec_b64 s[26:27], s[4:5]
	s_cbranch_execz .LBB41_32
; %bb.49:                               ;   in Loop: Header=BB41_33 Depth=2
	v_cmp_gt_u64_e32 vcc, s[24:25], v[12:13]
	s_and_saveexec_b64 s[28:29], vcc
	s_cbranch_execz .LBB41_51
; %bb.50:                               ;   in Loop: Header=BB41_33 Depth=2
	ds_read_b64 v[14:15], v19
	v_lshl_add_u64 v[12:13], v[12:13], 3, v[8:9]
	s_waitcnt lgkmcnt(0)
	global_store_dwordx2 v[12:13], v[14:15], off
.LBB41_51:                              ;   in Loop: Header=BB41_33 Depth=2
	s_or_b64 exec, exec, s[28:29]
	v_cmp_gt_u64_e32 vcc, s[24:25], v[10:11]
	s_and_b64 exec, exec, vcc
	s_cbranch_execz .LBB41_32
; %bb.52:                               ;   in Loop: Header=BB41_33 Depth=2
	ds_read_b64 v[12:13], v20
	v_lshl_add_u64 v[10:11], v[10:11], 3, v[8:9]
	s_waitcnt lgkmcnt(0)
	global_store_dwordx2 v[10:11], v[12:13], off
	s_branch .LBB41_32
.LBB41_53:
	s_endpgm
	.section	.rodata,"a",@progbits
	.p2align	6, 0x0
	.amdhsa_kernel _ZN2at6native32tensor_kernel_scan_innermost_dimIlSt4plusIlEEEvPT_PKS4_jjjS4_T0_
		.amdhsa_group_segment_fixed_size 0
		.amdhsa_private_segment_fixed_size 0
		.amdhsa_kernarg_size 304
		.amdhsa_user_sgpr_count 2
		.amdhsa_user_sgpr_dispatch_ptr 0
		.amdhsa_user_sgpr_queue_ptr 0
		.amdhsa_user_sgpr_kernarg_segment_ptr 1
		.amdhsa_user_sgpr_dispatch_id 0
		.amdhsa_user_sgpr_kernarg_preload_length 0
		.amdhsa_user_sgpr_kernarg_preload_offset 0
		.amdhsa_user_sgpr_private_segment_size 0
		.amdhsa_uses_dynamic_stack 0
		.amdhsa_enable_private_segment 0
		.amdhsa_system_sgpr_workgroup_id_x 1
		.amdhsa_system_sgpr_workgroup_id_y 0
		.amdhsa_system_sgpr_workgroup_id_z 0
		.amdhsa_system_sgpr_workgroup_info 0
		.amdhsa_system_vgpr_workitem_id 1
		.amdhsa_next_free_vgpr 24
		.amdhsa_next_free_sgpr 35
		.amdhsa_accum_offset 24
		.amdhsa_reserve_vcc 1
		.amdhsa_float_round_mode_32 0
		.amdhsa_float_round_mode_16_64 0
		.amdhsa_float_denorm_mode_32 3
		.amdhsa_float_denorm_mode_16_64 3
		.amdhsa_dx10_clamp 1
		.amdhsa_ieee_mode 1
		.amdhsa_fp16_overflow 0
		.amdhsa_tg_split 0
		.amdhsa_exception_fp_ieee_invalid_op 0
		.amdhsa_exception_fp_denorm_src 0
		.amdhsa_exception_fp_ieee_div_zero 0
		.amdhsa_exception_fp_ieee_overflow 0
		.amdhsa_exception_fp_ieee_underflow 0
		.amdhsa_exception_fp_ieee_inexact 0
		.amdhsa_exception_int_div_zero 0
	.end_amdhsa_kernel
	.section	.text._ZN2at6native32tensor_kernel_scan_innermost_dimIlSt4plusIlEEEvPT_PKS4_jjjS4_T0_,"axG",@progbits,_ZN2at6native32tensor_kernel_scan_innermost_dimIlSt4plusIlEEEvPT_PKS4_jjjS4_T0_,comdat
.Lfunc_end41:
	.size	_ZN2at6native32tensor_kernel_scan_innermost_dimIlSt4plusIlEEEvPT_PKS4_jjjS4_T0_, .Lfunc_end41-_ZN2at6native32tensor_kernel_scan_innermost_dimIlSt4plusIlEEEvPT_PKS4_jjjS4_T0_
                                        ; -- End function
	.section	.AMDGPU.csdata,"",@progbits
; Kernel info:
; codeLenInByte = 1648
; NumSgprs: 41
; NumVgprs: 24
; NumAgprs: 0
; TotalNumVgprs: 24
; ScratchSize: 0
; MemoryBound: 0
; FloatMode: 240
; IeeeMode: 1
; LDSByteSize: 0 bytes/workgroup (compile time only)
; SGPRBlocks: 5
; VGPRBlocks: 2
; NumSGPRsForWavesPerEU: 41
; NumVGPRsForWavesPerEU: 24
; AccumOffset: 24
; Occupancy: 8
; WaveLimiterHint : 0
; COMPUTE_PGM_RSRC2:SCRATCH_EN: 0
; COMPUTE_PGM_RSRC2:USER_SGPR: 2
; COMPUTE_PGM_RSRC2:TRAP_HANDLER: 0
; COMPUTE_PGM_RSRC2:TGID_X_EN: 1
; COMPUTE_PGM_RSRC2:TGID_Y_EN: 0
; COMPUTE_PGM_RSRC2:TGID_Z_EN: 0
; COMPUTE_PGM_RSRC2:TIDIG_COMP_CNT: 1
; COMPUTE_PGM_RSRC3_GFX90A:ACCUM_OFFSET: 5
; COMPUTE_PGM_RSRC3_GFX90A:TG_SPLIT: 0
	.section	.text._ZN2at6native28tensor_kernel_scan_outer_dimIljSt4plusIlEEEvPT_PKS4_jjjS4_T1_,"axG",@progbits,_ZN2at6native28tensor_kernel_scan_outer_dimIljSt4plusIlEEEvPT_PKS4_jjjS4_T1_,comdat
	.protected	_ZN2at6native28tensor_kernel_scan_outer_dimIljSt4plusIlEEEvPT_PKS4_jjjS4_T1_ ; -- Begin function _ZN2at6native28tensor_kernel_scan_outer_dimIljSt4plusIlEEEvPT_PKS4_jjjS4_T1_
	.globl	_ZN2at6native28tensor_kernel_scan_outer_dimIljSt4plusIlEEEvPT_PKS4_jjjS4_T1_
	.p2align	8
	.type	_ZN2at6native28tensor_kernel_scan_outer_dimIljSt4plusIlEEEvPT_PKS4_jjjS4_T1_,@function
_ZN2at6native28tensor_kernel_scan_outer_dimIljSt4plusIlEEEvPT_PKS4_jjjS4_T1_: ; @_ZN2at6native28tensor_kernel_scan_outer_dimIljSt4plusIlEEEvPT_PKS4_jjjS4_T1_
; %bb.0:
	s_load_dwordx4 s[8:11], s[0:1], 0x10
	s_waitcnt lgkmcnt(0)
	s_cmp_ge_u32 s2, s8
	s_cbranch_scc1 .LBB42_9
; %bb.1:
	s_load_dword s11, s[0:1], 0x30
	s_load_dword s4, s[0:1], 0x3c
	s_load_dwordx4 s[12:15], s[0:1], 0x0
	s_load_dwordx2 s[6:7], s[0:1], 0x20
	s_add_u32 s16, s0, 48
	s_addc_u32 s17, s1, 0
	s_waitcnt lgkmcnt(0)
	s_and_b32 s28, s4, 0xffff
	s_mul_i32 s3, s3, s28
	s_cmp_lg_u32 s10, 0
	v_add_u32_e32 v6, s3, v0
	s_mul_i32 s3, s2, s10
	s_cselect_b64 s[4:5], -1, 0
	s_mov_b32 s19, 0
	s_mov_b32 s18, s9
	s_mul_i32 s22, s3, s9
	s_mul_i32 s3, s11, s10
	v_cndmask_b32_e64 v0, 0, 1, s[4:5]
	v_cmp_gt_u32_e64 s[0:1], s9, v6
	s_mul_i32 s3, s3, s9
	s_lshl_b64 s[20:21], s[18:19], 3
	v_cmp_ne_u32_e64 s[4:5], 1, v0
	v_mov_b32_e32 v1, 0
	s_mov_b32 s18, s22
	s_branch .LBB42_3
.LBB42_2:                               ;   in Loop: Header=BB42_3 Depth=1
	s_or_b64 exec, exec, s[22:23]
	s_add_i32 s2, s11, s2
	s_add_i32 s18, s18, s3
	s_cmp_ge_u32 s2, s8
	s_cbranch_scc1 .LBB42_9
.LBB42_3:                               ; =>This Loop Header: Depth=1
                                        ;     Child Loop BB42_6 Depth 2
                                        ;       Child Loop BB42_8 Depth 3
	s_and_saveexec_b64 s[22:23], s[0:1]
	s_cbranch_execz .LBB42_2
; %bb.4:                                ;   in Loop: Header=BB42_3 Depth=1
	s_load_dword s29, s[16:17], 0x4
	s_lshl_b64 s[24:25], s[18:19], 3
	s_mov_b64 s[26:27], 0
	v_mov_b32_e32 v0, v6
	s_waitcnt lgkmcnt(0)
	s_mul_i32 s29, s29, s28
	s_branch .LBB42_6
.LBB42_5:                               ;   in Loop: Header=BB42_6 Depth=2
	v_add_u32_e32 v0, s29, v0
	v_cmp_le_u32_e32 vcc, s9, v0
	s_or_b64 s[26:27], vcc, s[26:27]
	s_andn2_b64 exec, exec, s[26:27]
	s_cbranch_execz .LBB42_2
.LBB42_6:                               ;   Parent Loop BB42_3 Depth=1
                                        ; =>  This Loop Header: Depth=2
                                        ;       Child Loop BB42_8 Depth 3
	s_and_b64 vcc, exec, s[4:5]
	s_cbranch_vccnz .LBB42_5
; %bb.7:                                ;   in Loop: Header=BB42_6 Depth=2
	v_lshl_add_u64 v[2:3], v[0:1], 3, s[24:25]
	v_mov_b64_e32 v[4:5], s[6:7]
	s_mov_b32 s30, s10
.LBB42_8:                               ;   Parent Loop BB42_3 Depth=1
                                        ;     Parent Loop BB42_6 Depth=2
                                        ; =>    This Inner Loop Header: Depth=3
	v_lshl_add_u64 v[8:9], s[14:15], 0, v[2:3]
	global_load_dwordx2 v[8:9], v[8:9], off
	s_add_i32 s30, s30, -1
	v_lshl_add_u64 v[10:11], s[12:13], 0, v[2:3]
	v_lshl_add_u64 v[2:3], v[2:3], 0, s[20:21]
	s_cmp_eq_u32 s30, 0
	s_waitcnt vmcnt(0)
	v_lshl_add_u64 v[4:5], v[8:9], 0, v[4:5]
	global_store_dwordx2 v[10:11], v[4:5], off
	s_cbranch_scc0 .LBB42_8
	s_branch .LBB42_5
.LBB42_9:
	s_endpgm
	.section	.rodata,"a",@progbits
	.p2align	6, 0x0
	.amdhsa_kernel _ZN2at6native28tensor_kernel_scan_outer_dimIljSt4plusIlEEEvPT_PKS4_jjjS4_T1_
		.amdhsa_group_segment_fixed_size 0
		.amdhsa_private_segment_fixed_size 0
		.amdhsa_kernarg_size 304
		.amdhsa_user_sgpr_count 2
		.amdhsa_user_sgpr_dispatch_ptr 0
		.amdhsa_user_sgpr_queue_ptr 0
		.amdhsa_user_sgpr_kernarg_segment_ptr 1
		.amdhsa_user_sgpr_dispatch_id 0
		.amdhsa_user_sgpr_kernarg_preload_length 0
		.amdhsa_user_sgpr_kernarg_preload_offset 0
		.amdhsa_user_sgpr_private_segment_size 0
		.amdhsa_uses_dynamic_stack 0
		.amdhsa_enable_private_segment 0
		.amdhsa_system_sgpr_workgroup_id_x 1
		.amdhsa_system_sgpr_workgroup_id_y 1
		.amdhsa_system_sgpr_workgroup_id_z 0
		.amdhsa_system_sgpr_workgroup_info 0
		.amdhsa_system_vgpr_workitem_id 0
		.amdhsa_next_free_vgpr 12
		.amdhsa_next_free_sgpr 31
		.amdhsa_accum_offset 12
		.amdhsa_reserve_vcc 1
		.amdhsa_float_round_mode_32 0
		.amdhsa_float_round_mode_16_64 0
		.amdhsa_float_denorm_mode_32 3
		.amdhsa_float_denorm_mode_16_64 3
		.amdhsa_dx10_clamp 1
		.amdhsa_ieee_mode 1
		.amdhsa_fp16_overflow 0
		.amdhsa_tg_split 0
		.amdhsa_exception_fp_ieee_invalid_op 0
		.amdhsa_exception_fp_denorm_src 0
		.amdhsa_exception_fp_ieee_div_zero 0
		.amdhsa_exception_fp_ieee_overflow 0
		.amdhsa_exception_fp_ieee_underflow 0
		.amdhsa_exception_fp_ieee_inexact 0
		.amdhsa_exception_int_div_zero 0
	.end_amdhsa_kernel
	.section	.text._ZN2at6native28tensor_kernel_scan_outer_dimIljSt4plusIlEEEvPT_PKS4_jjjS4_T1_,"axG",@progbits,_ZN2at6native28tensor_kernel_scan_outer_dimIljSt4plusIlEEEvPT_PKS4_jjjS4_T1_,comdat
.Lfunc_end42:
	.size	_ZN2at6native28tensor_kernel_scan_outer_dimIljSt4plusIlEEEvPT_PKS4_jjjS4_T1_, .Lfunc_end42-_ZN2at6native28tensor_kernel_scan_outer_dimIljSt4plusIlEEEvPT_PKS4_jjjS4_T1_
                                        ; -- End function
	.section	.AMDGPU.csdata,"",@progbits
; Kernel info:
; codeLenInByte = 328
; NumSgprs: 37
; NumVgprs: 12
; NumAgprs: 0
; TotalNumVgprs: 12
; ScratchSize: 0
; MemoryBound: 0
; FloatMode: 240
; IeeeMode: 1
; LDSByteSize: 0 bytes/workgroup (compile time only)
; SGPRBlocks: 4
; VGPRBlocks: 1
; NumSGPRsForWavesPerEU: 37
; NumVGPRsForWavesPerEU: 12
; AccumOffset: 12
; Occupancy: 8
; WaveLimiterHint : 0
; COMPUTE_PGM_RSRC2:SCRATCH_EN: 0
; COMPUTE_PGM_RSRC2:USER_SGPR: 2
; COMPUTE_PGM_RSRC2:TRAP_HANDLER: 0
; COMPUTE_PGM_RSRC2:TGID_X_EN: 1
; COMPUTE_PGM_RSRC2:TGID_Y_EN: 1
; COMPUTE_PGM_RSRC2:TGID_Z_EN: 0
; COMPUTE_PGM_RSRC2:TIDIG_COMP_CNT: 0
; COMPUTE_PGM_RSRC3_GFX90A:ACCUM_OFFSET: 2
; COMPUTE_PGM_RSRC3_GFX90A:TG_SPLIT: 0
	.section	.text._ZN2at6native28tensor_kernel_scan_outer_dimIlmSt4plusIlEEEvPT_PKS4_jjjS4_T1_,"axG",@progbits,_ZN2at6native28tensor_kernel_scan_outer_dimIlmSt4plusIlEEEvPT_PKS4_jjjS4_T1_,comdat
	.protected	_ZN2at6native28tensor_kernel_scan_outer_dimIlmSt4plusIlEEEvPT_PKS4_jjjS4_T1_ ; -- Begin function _ZN2at6native28tensor_kernel_scan_outer_dimIlmSt4plusIlEEEvPT_PKS4_jjjS4_T1_
	.globl	_ZN2at6native28tensor_kernel_scan_outer_dimIlmSt4plusIlEEEvPT_PKS4_jjjS4_T1_
	.p2align	8
	.type	_ZN2at6native28tensor_kernel_scan_outer_dimIlmSt4plusIlEEEvPT_PKS4_jjjS4_T1_,@function
_ZN2at6native28tensor_kernel_scan_outer_dimIlmSt4plusIlEEEvPT_PKS4_jjjS4_T1_: ; @_ZN2at6native28tensor_kernel_scan_outer_dimIlmSt4plusIlEEEvPT_PKS4_jjjS4_T1_
; %bb.0:
	s_load_dwordx4 s[8:11], s[0:1], 0x10
	s_waitcnt lgkmcnt(0)
	s_cmp_ge_u32 s2, s8
	s_cbranch_scc1 .LBB43_9
; %bb.1:
	s_load_dword s11, s[0:1], 0x30
	s_load_dword s4, s[0:1], 0x3c
	s_load_dwordx4 s[12:15], s[0:1], 0x0
	s_load_dwordx2 s[6:7], s[0:1], 0x20
	s_add_u32 s16, s0, 48
	s_addc_u32 s17, s1, 0
	s_waitcnt lgkmcnt(0)
	s_and_b32 s28, s4, 0xffff
	s_cmp_lg_u32 s10, 0
	s_mul_i32 s3, s3, s28
	s_cselect_b64 s[22:23], -1, 0
	v_add_u32_e32 v6, s3, v0
	s_mov_b32 s5, 0
	s_mov_b32 s4, s9
	s_mul_hi_u32 s19, s10, s9
	s_mul_i32 s18, s10, s9
	v_cndmask_b32_e64 v0, 0, 1, s[22:23]
	v_cmp_gt_u32_e64 s[0:1], s9, v6
	s_lshl_b64 s[18:19], s[18:19], 3
	s_lshl_b64 s[20:21], s[4:5], 3
	v_cmp_ne_u32_e64 s[4:5], 1, v0
	v_mov_b32_e32 v1, 0
	s_branch .LBB43_3
.LBB43_2:                               ;   in Loop: Header=BB43_3 Depth=1
	s_or_b64 exec, exec, s[22:23]
	s_add_i32 s2, s2, s11
	s_cmp_ge_u32 s2, s8
	s_cbranch_scc1 .LBB43_9
.LBB43_3:                               ; =>This Loop Header: Depth=1
                                        ;     Child Loop BB43_6 Depth 2
                                        ;       Child Loop BB43_8 Depth 3
	s_and_saveexec_b64 s[22:23], s[0:1]
	s_cbranch_execz .LBB43_2
; %bb.4:                                ;   in Loop: Header=BB43_3 Depth=1
	s_load_dword s3, s[16:17], 0x4
	s_mul_i32 s25, s19, s2
	s_mul_hi_u32 s26, s18, s2
	s_mul_i32 s24, s18, s2
	s_add_i32 s25, s26, s25
	s_waitcnt lgkmcnt(0)
	s_mul_i32 s3, s3, s28
	s_mov_b64 s[26:27], 0
	v_mov_b32_e32 v0, v6
	s_branch .LBB43_6
.LBB43_5:                               ;   in Loop: Header=BB43_6 Depth=2
	v_add_u32_e32 v0, s3, v0
	v_cmp_le_u32_e32 vcc, s9, v0
	s_or_b64 s[26:27], vcc, s[26:27]
	s_andn2_b64 exec, exec, s[26:27]
	s_cbranch_execz .LBB43_2
.LBB43_6:                               ;   Parent Loop BB43_3 Depth=1
                                        ; =>  This Loop Header: Depth=2
                                        ;       Child Loop BB43_8 Depth 3
	s_and_b64 vcc, exec, s[4:5]
	s_cbranch_vccnz .LBB43_5
; %bb.7:                                ;   in Loop: Header=BB43_6 Depth=2
	v_lshl_add_u64 v[2:3], v[0:1], 3, s[24:25]
	v_mov_b64_e32 v[4:5], s[6:7]
	s_mov_b32 s29, s10
.LBB43_8:                               ;   Parent Loop BB43_3 Depth=1
                                        ;     Parent Loop BB43_6 Depth=2
                                        ; =>    This Inner Loop Header: Depth=3
	v_lshl_add_u64 v[8:9], s[14:15], 0, v[2:3]
	global_load_dwordx2 v[8:9], v[8:9], off
	s_add_i32 s29, s29, -1
	v_lshl_add_u64 v[10:11], s[12:13], 0, v[2:3]
	v_lshl_add_u64 v[2:3], v[2:3], 0, s[20:21]
	s_cmp_eq_u32 s29, 0
	s_waitcnt vmcnt(0)
	v_lshl_add_u64 v[4:5], v[8:9], 0, v[4:5]
	global_store_dwordx2 v[10:11], v[4:5], off
	s_cbranch_scc0 .LBB43_8
	s_branch .LBB43_5
.LBB43_9:
	s_endpgm
	.section	.rodata,"a",@progbits
	.p2align	6, 0x0
	.amdhsa_kernel _ZN2at6native28tensor_kernel_scan_outer_dimIlmSt4plusIlEEEvPT_PKS4_jjjS4_T1_
		.amdhsa_group_segment_fixed_size 0
		.amdhsa_private_segment_fixed_size 0
		.amdhsa_kernarg_size 304
		.amdhsa_user_sgpr_count 2
		.amdhsa_user_sgpr_dispatch_ptr 0
		.amdhsa_user_sgpr_queue_ptr 0
		.amdhsa_user_sgpr_kernarg_segment_ptr 1
		.amdhsa_user_sgpr_dispatch_id 0
		.amdhsa_user_sgpr_kernarg_preload_length 0
		.amdhsa_user_sgpr_kernarg_preload_offset 0
		.amdhsa_user_sgpr_private_segment_size 0
		.amdhsa_uses_dynamic_stack 0
		.amdhsa_enable_private_segment 0
		.amdhsa_system_sgpr_workgroup_id_x 1
		.amdhsa_system_sgpr_workgroup_id_y 1
		.amdhsa_system_sgpr_workgroup_id_z 0
		.amdhsa_system_sgpr_workgroup_info 0
		.amdhsa_system_vgpr_workitem_id 0
		.amdhsa_next_free_vgpr 12
		.amdhsa_next_free_sgpr 30
		.amdhsa_accum_offset 12
		.amdhsa_reserve_vcc 1
		.amdhsa_float_round_mode_32 0
		.amdhsa_float_round_mode_16_64 0
		.amdhsa_float_denorm_mode_32 3
		.amdhsa_float_denorm_mode_16_64 3
		.amdhsa_dx10_clamp 1
		.amdhsa_ieee_mode 1
		.amdhsa_fp16_overflow 0
		.amdhsa_tg_split 0
		.amdhsa_exception_fp_ieee_invalid_op 0
		.amdhsa_exception_fp_denorm_src 0
		.amdhsa_exception_fp_ieee_div_zero 0
		.amdhsa_exception_fp_ieee_overflow 0
		.amdhsa_exception_fp_ieee_underflow 0
		.amdhsa_exception_fp_ieee_inexact 0
		.amdhsa_exception_int_div_zero 0
	.end_amdhsa_kernel
	.section	.text._ZN2at6native28tensor_kernel_scan_outer_dimIlmSt4plusIlEEEvPT_PKS4_jjjS4_T1_,"axG",@progbits,_ZN2at6native28tensor_kernel_scan_outer_dimIlmSt4plusIlEEEvPT_PKS4_jjjS4_T1_,comdat
.Lfunc_end43:
	.size	_ZN2at6native28tensor_kernel_scan_outer_dimIlmSt4plusIlEEEvPT_PKS4_jjjS4_T1_, .Lfunc_end43-_ZN2at6native28tensor_kernel_scan_outer_dimIlmSt4plusIlEEEvPT_PKS4_jjjS4_T1_
                                        ; -- End function
	.section	.AMDGPU.csdata,"",@progbits
; Kernel info:
; codeLenInByte = 328
; NumSgprs: 36
; NumVgprs: 12
; NumAgprs: 0
; TotalNumVgprs: 12
; ScratchSize: 0
; MemoryBound: 0
; FloatMode: 240
; IeeeMode: 1
; LDSByteSize: 0 bytes/workgroup (compile time only)
; SGPRBlocks: 4
; VGPRBlocks: 1
; NumSGPRsForWavesPerEU: 36
; NumVGPRsForWavesPerEU: 12
; AccumOffset: 12
; Occupancy: 8
; WaveLimiterHint : 0
; COMPUTE_PGM_RSRC2:SCRATCH_EN: 0
; COMPUTE_PGM_RSRC2:USER_SGPR: 2
; COMPUTE_PGM_RSRC2:TRAP_HANDLER: 0
; COMPUTE_PGM_RSRC2:TGID_X_EN: 1
; COMPUTE_PGM_RSRC2:TGID_Y_EN: 1
; COMPUTE_PGM_RSRC2:TGID_Z_EN: 0
; COMPUTE_PGM_RSRC2:TIDIG_COMP_CNT: 0
; COMPUTE_PGM_RSRC3_GFX90A:ACCUM_OFFSET: 2
; COMPUTE_PGM_RSRC3_GFX90A:TG_SPLIT: 0
	.section	.text._ZN2at4cuda3cub15calc_block_sumsILi512ELi16ELb0EssEEvPKT2_PT3_li,"axG",@progbits,_ZN2at4cuda3cub15calc_block_sumsILi512ELi16ELb0EssEEvPKT2_PT3_li,comdat
	.protected	_ZN2at4cuda3cub15calc_block_sumsILi512ELi16ELb0EssEEvPKT2_PT3_li ; -- Begin function _ZN2at4cuda3cub15calc_block_sumsILi512ELi16ELb0EssEEvPKT2_PT3_li
	.globl	_ZN2at4cuda3cub15calc_block_sumsILi512ELi16ELb0EssEEvPKT2_PT3_li
	.p2align	8
	.type	_ZN2at4cuda3cub15calc_block_sumsILi512ELi16ELb0EssEEvPKT2_PT3_li,@function
_ZN2at4cuda3cub15calc_block_sumsILi512ELi16ELb0EssEEvPKT2_PT3_li: ; @_ZN2at4cuda3cub15calc_block_sumsILi512ELi16ELb0EssEEvPKT2_PT3_li
; %bb.0:
	s_load_dword s20, s[0:1], 0x18
	s_load_dwordx2 s[4:5], s[0:1], 0x10
	s_waitcnt lgkmcnt(0)
	s_lshl_b32 s3, s20, 13
	s_ashr_i32 s6, s3, 31
	s_mul_hi_u32 s7, s3, s2
	s_mul_i32 s6, s6, s2
	s_add_i32 s7, s7, s6
	s_mul_i32 s6, s3, s2
	s_sub_u32 s16, s4, s6
	s_subb_u32 s17, s5, s7
	v_cmp_lt_i64_e64 s[8:9], s[16:17], 1
	s_and_b64 vcc, exec, s[8:9]
	s_cbranch_vccnz .LBB44_54
; %bb.1:
	s_load_dwordx4 s[12:15], s[0:1], 0x0
	s_cmp_gt_i32 s20, 0
	s_mov_b32 s3, 0
	s_cbranch_scc1 .LBB44_3
; %bb.2:
	s_mov_b64 s[18:19], 0
	v_mov_b32_e32 v29, s3
	s_cbranch_execz .LBB44_4
	s_branch .LBB44_52
.LBB44_3:
	s_mov_b64 s[18:19], -1
	v_mov_b32_e32 v29, s3
.LBB44_4:
	s_mul_i32 s5, s2, s20
	s_lshl_b32 s5, s5, 13
	s_sub_i32 s21, s4, s5
	s_lshl_b64 s[4:5], s[6:7], 1
	v_lshrrev_b32_e32 v2, 5, v0
	s_waitcnt lgkmcnt(0)
	s_add_u32 s4, s12, s4
	v_and_b32_e32 v31, 30, v2
	v_lshlrev_b32_e32 v2, 1, v0
	v_mov_b32_e32 v3, 0
	s_addc_u32 s5, s13, s5
	v_lshl_add_u64 v[14:15], s[4:5], 0, v[2:3]
	v_mbcnt_lo_u32_b32 v2, -1, 0
	v_mbcnt_hi_u32_b32 v32, -1, v2
	v_bfrev_b32_e32 v2, 0.5
	v_add_u32_e32 v1, 0x200, v0
	v_or_b32_e32 v16, 0x400, v0
	v_add_u32_e32 v17, 0x600, v0
	v_or_b32_e32 v18, 0x800, v0
	;; [unrolled: 2-line block ×7, first 2 shown]
	v_add_u32_e32 v30, 0x1e00, v0
	v_cmp_gt_u32_e64 s[0:1], 64, v0
	s_mov_b32 s4, 0
	s_mov_b64 s[18:19], -1
	v_mov_b64_e32 v[12:13], 0x2000
	s_mov_b32 s22, 0x5040100
	s_mov_b32 s23, 0xffff
	s_mov_b64 s[12:13], 0x4000
	v_lshl_or_b32 v33, v32, 2, v2
	v_mov_b32_e32 v29, 0
	s_mov_b32 s24, 0
	s_branch .LBB44_6
.LBB44_5:                               ;   in Loop: Header=BB44_6 Depth=1
	s_add_u32 s16, s16, 0xffffe000
	s_addc_u32 s17, s17, -1
	s_add_i32 s24, s24, 1
	s_cmp_lt_i32 s24, s20
	s_cselect_b64 s[18:19], -1, 0
	s_addk_i32 s21, 0xe000
	s_cmp_eq_u32 s20, s24
	v_lshl_add_u64 v[14:15], v[14:15], 0, s[12:13]
	s_cselect_b64 s[6:7], -1, 0
	s_barrier
	s_andn2_b64 vcc, exec, s[6:7]
	s_cbranch_vccz .LBB44_52
.LBB44_6:                               ; =>This Inner Loop Header: Depth=1
	v_cmp_lt_i64_e32 vcc, s[16:17], v[12:13]
	s_mov_b64 s[6:7], -1
                                        ; implicit-def: $vgpr2
	s_cbranch_vccz .LBB44_29
; %bb.7:                                ;   in Loop: Header=BB44_6 Depth=1
	s_mov_b32 s5, s4
	s_mov_b32 s6, s4
	;; [unrolled: 1-line block ×7, first 2 shown]
	v_mov_b64_e32 v[4:5], s[4:5]
	v_cmp_gt_u32_e32 vcc, s21, v0
	v_mov_b64_e32 v[6:7], s[6:7]
	v_mov_b64_e32 v[8:9], s[8:9]
	;; [unrolled: 1-line block ×3, first 2 shown]
	s_and_saveexec_b64 s[6:7], vcc
	s_cbranch_execnz .LBB44_37
; %bb.8:                                ;   in Loop: Header=BB44_6 Depth=1
	s_or_b64 exec, exec, s[6:7]
	v_cmp_gt_u32_e32 vcc, s21, v1
	s_and_saveexec_b64 s[6:7], vcc
	s_cbranch_execnz .LBB44_38
.LBB44_9:                               ;   in Loop: Header=BB44_6 Depth=1
	s_or_b64 exec, exec, s[6:7]
	v_cmp_gt_u32_e32 vcc, s21, v16
	s_and_saveexec_b64 s[6:7], vcc
	s_cbranch_execnz .LBB44_39
.LBB44_10:                              ;   in Loop: Header=BB44_6 Depth=1
	s_or_b64 exec, exec, s[6:7]
	v_cmp_gt_u32_e32 vcc, s21, v17
	s_and_saveexec_b64 s[6:7], vcc
	s_cbranch_execnz .LBB44_40
.LBB44_11:                              ;   in Loop: Header=BB44_6 Depth=1
	s_or_b64 exec, exec, s[6:7]
	v_cmp_gt_u32_e32 vcc, s21, v18
	s_and_saveexec_b64 s[6:7], vcc
	s_cbranch_execnz .LBB44_41
.LBB44_12:                              ;   in Loop: Header=BB44_6 Depth=1
	s_or_b64 exec, exec, s[6:7]
	v_cmp_gt_u32_e32 vcc, s21, v19
	s_and_saveexec_b64 s[6:7], vcc
	s_cbranch_execnz .LBB44_42
.LBB44_13:                              ;   in Loop: Header=BB44_6 Depth=1
	s_or_b64 exec, exec, s[6:7]
	v_cmp_gt_u32_e32 vcc, s21, v20
	s_and_saveexec_b64 s[6:7], vcc
	s_cbranch_execnz .LBB44_43
.LBB44_14:                              ;   in Loop: Header=BB44_6 Depth=1
	s_or_b64 exec, exec, s[6:7]
	v_cmp_gt_u32_e32 vcc, s21, v21
	s_and_saveexec_b64 s[6:7], vcc
	s_cbranch_execnz .LBB44_44
.LBB44_15:                              ;   in Loop: Header=BB44_6 Depth=1
	s_or_b64 exec, exec, s[6:7]
	v_cmp_gt_u32_e32 vcc, s21, v22
	s_and_saveexec_b64 s[6:7], vcc
	s_cbranch_execnz .LBB44_45
.LBB44_16:                              ;   in Loop: Header=BB44_6 Depth=1
	s_or_b64 exec, exec, s[6:7]
	v_cmp_gt_u32_e32 vcc, s21, v23
	s_and_saveexec_b64 s[6:7], vcc
	s_cbranch_execnz .LBB44_46
.LBB44_17:                              ;   in Loop: Header=BB44_6 Depth=1
	s_or_b64 exec, exec, s[6:7]
	v_cmp_gt_u32_e32 vcc, s21, v24
	s_and_saveexec_b64 s[6:7], vcc
	s_cbranch_execnz .LBB44_47
.LBB44_18:                              ;   in Loop: Header=BB44_6 Depth=1
	s_or_b64 exec, exec, s[6:7]
	v_cmp_gt_u32_e32 vcc, s21, v25
	s_and_saveexec_b64 s[6:7], vcc
	s_cbranch_execnz .LBB44_48
.LBB44_19:                              ;   in Loop: Header=BB44_6 Depth=1
	s_or_b64 exec, exec, s[6:7]
	v_cmp_gt_u32_e32 vcc, s21, v26
	s_and_saveexec_b64 s[6:7], vcc
	s_cbranch_execnz .LBB44_49
.LBB44_20:                              ;   in Loop: Header=BB44_6 Depth=1
	s_or_b64 exec, exec, s[6:7]
	v_cmp_gt_u32_e32 vcc, s21, v27
	s_and_saveexec_b64 s[6:7], vcc
	s_cbranch_execnz .LBB44_50
.LBB44_21:                              ;   in Loop: Header=BB44_6 Depth=1
	s_or_b64 exec, exec, s[6:7]
	v_cmp_gt_u32_e32 vcc, s21, v28
	s_and_saveexec_b64 s[6:7], vcc
	s_cbranch_execnz .LBB44_51
.LBB44_22:                              ;   in Loop: Header=BB44_6 Depth=1
	s_or_b64 exec, exec, s[6:7]
	v_cmp_gt_u32_e32 vcc, s21, v30
	s_and_saveexec_b64 s[6:7], vcc
	s_cbranch_execz .LBB44_24
.LBB44_23:                              ;   in Loop: Header=BB44_6 Depth=1
	v_add_co_u32_e32 v34, vcc, 0x3000, v14
	s_nop 1
	v_addc_co_u32_e32 v35, vcc, 0, v15, vcc
	global_load_ushort v2, v[34:35], off offset:3072
	s_waitcnt vmcnt(0)
	v_perm_b32 v11, v2, v11, s22
.LBB44_24:                              ;   in Loop: Header=BB44_6 Depth=1
	s_or_b64 exec, exec, s[6:7]
	v_add_u16_sdwa v2, v4, v4 dst_sel:DWORD dst_unused:UNUSED_PAD src0_sel:WORD_1 src1_sel:DWORD
	v_add_u16_e32 v2, v2, v5
	v_add_u16_sdwa v2, v2, v5 dst_sel:DWORD dst_unused:UNUSED_PAD src0_sel:DWORD src1_sel:WORD_1
	v_add_u16_e32 v2, v2, v6
	v_add_u16_sdwa v2, v2, v6 dst_sel:DWORD dst_unused:UNUSED_PAD src0_sel:DWORD src1_sel:WORD_1
	;; [unrolled: 2-line block ×7, first 2 shown]
	v_cmp_eq_u32_e32 vcc, 0, v32
	s_nop 0
	v_mov_b32_dpp v4, v2 quad_perm:[1,0,3,2] row_mask:0xf bank_mask:0xf
	v_add_u16_e32 v2, v2, v4
	s_barrier
	s_nop 0
	v_mov_b32_dpp v4, v2 quad_perm:[2,3,0,1] row_mask:0xf bank_mask:0xf
	v_add_u16_e32 v2, v2, v4
	s_nop 1
	v_mov_b32_dpp v4, v2 row_ror:4 row_mask:0xf bank_mask:0xf
	v_add_u16_e32 v2, v2, v4
	s_nop 1
	v_mov_b32_dpp v4, v2 row_ror:8 row_mask:0xf bank_mask:0xf
	v_add_u16_e32 v2, v2, v4
	s_nop 1
	v_mov_b32_dpp v4, v2 row_bcast:15 row_mask:0xf bank_mask:0xf
	v_add_u16_e32 v2, v2, v4
	s_nop 1
	v_mov_b32_dpp v4, v2 row_bcast:31 row_mask:0xf bank_mask:0xf
	v_add_u16_e32 v2, v2, v4
	ds_bpermute_b32 v2, v33, v2
	s_and_saveexec_b64 s[6:7], vcc
	s_cbranch_execz .LBB44_26
; %bb.25:                               ;   in Loop: Header=BB44_6 Depth=1
	s_waitcnt lgkmcnt(0)
	ds_write_b16 v31, v2
.LBB44_26:                              ;   in Loop: Header=BB44_6 Depth=1
	s_or_b64 exec, exec, s[6:7]
	s_waitcnt lgkmcnt(0)
	s_barrier
	s_and_saveexec_b64 s[6:7], s[0:1]
	s_cbranch_execz .LBB44_28
; %bb.27:                               ;   in Loop: Header=BB44_6 Depth=1
	v_and_b32_e32 v2, 7, v32
	v_lshlrev_b32_e32 v4, 1, v2
	ds_read_u16 v4, v4
	v_cmp_ne_u32_e32 vcc, 7, v2
	s_waitcnt lgkmcnt(0)
	v_and_b32_e32 v6, 0xffff, v4
	v_addc_co_u32_e32 v5, vcc, 0, v32, vcc
	v_lshlrev_b32_e32 v5, 2, v5
	ds_bpermute_b32 v5, v5, v6
	v_cmp_gt_u32_e32 vcc, 6, v2
	s_waitcnt lgkmcnt(0)
	v_add_u16_e32 v4, v4, v5
	v_cndmask_b32_e64 v6, 0, 1, vcc
	v_lshlrev_b32_e32 v6, 1, v6
	v_add_lshl_u32 v6, v6, v32, 2
	ds_bpermute_b32 v5, v6, v4
	v_cmp_gt_u32_e32 vcc, 4, v2
	s_waitcnt lgkmcnt(0)
	v_add_u16_e32 v4, v4, v5
	v_cndmask_b32_e64 v2, 0, 1, vcc
	v_lshlrev_b32_e32 v2, 2, v2
	v_add_lshl_u32 v2, v2, v32, 2
	ds_bpermute_b32 v2, v2, v4
	s_waitcnt lgkmcnt(0)
	v_add_u16_e32 v2, v4, v2
.LBB44_28:                              ;   in Loop: Header=BB44_6 Depth=1
	s_or_b64 exec, exec, s[6:7]
	s_mov_b64 s[6:7], 0
.LBB44_29:                              ;   in Loop: Header=BB44_6 Depth=1
	s_and_b64 vcc, exec, s[6:7]
	s_cbranch_vccz .LBB44_35
; %bb.30:                               ;   in Loop: Header=BB44_6 Depth=1
	global_load_ushort v2, v[14:15], off
	global_load_ushort v8, v[14:15], off offset:1024
	global_load_ushort v9, v[14:15], off offset:2048
	;; [unrolled: 1-line block ×3, first 2 shown]
	v_add_co_u32_e32 v4, vcc, 0x1000, v14
	s_waitcnt vmcnt(2)
	v_add_u16_e32 v2, v8, v2
	v_addc_co_u32_e32 v5, vcc, 0, v15, vcc
	v_add_co_u32_e32 v6, vcc, 0x2000, v14
	s_waitcnt vmcnt(1)
	v_add_u16_e32 v2, v2, v9
	v_addc_co_u32_e32 v7, vcc, 0, v15, vcc
	global_load_ushort v11, v[4:5], off
	global_load_ushort v34, v[4:5], off offset:1024
	global_load_ushort v35, v[4:5], off offset:2048
	global_load_ushort v36, v[4:5], off offset:3072
	global_load_ushort v37, v[6:7], off
	global_load_ushort v38, v[6:7], off offset:1024
	global_load_ushort v39, v[6:7], off offset:2048
	;; [unrolled: 1-line block ×3, first 2 shown]
	v_add_co_u32_e32 v4, vcc, 0x3000, v14
	s_waitcnt vmcnt(8)
	v_add_u16_e32 v2, v2, v10
	v_addc_co_u32_e32 v5, vcc, 0, v15, vcc
	global_load_ushort v6, v[4:5], off
	global_load_ushort v7, v[4:5], off offset:1024
	global_load_ushort v41, v[4:5], off offset:2048
	;; [unrolled: 1-line block ×3, first 2 shown]
	v_cmp_eq_u32_e32 vcc, 0, v32
	s_barrier
	s_waitcnt vmcnt(11)
	v_add_u16_e32 v2, v2, v11
	s_waitcnt vmcnt(10)
	v_add_u16_e32 v2, v2, v34
	;; [unrolled: 2-line block ×12, first 2 shown]
	s_nop 1
	v_mov_b32_dpp v4, v2 quad_perm:[1,0,3,2] row_mask:0xf bank_mask:0xf
	v_add_u16_e32 v2, v2, v4
	s_nop 1
	v_mov_b32_dpp v4, v2 quad_perm:[2,3,0,1] row_mask:0xf bank_mask:0xf
	v_add_u16_e32 v2, v2, v4
	s_nop 1
	v_mov_b32_dpp v4, v2 row_ror:4 row_mask:0xf bank_mask:0xf
	v_add_u16_e32 v2, v2, v4
	s_nop 1
	v_mov_b32_dpp v4, v2 row_ror:8 row_mask:0xf bank_mask:0xf
	v_add_u16_e32 v2, v2, v4
	s_nop 1
	v_mov_b32_dpp v4, v2 row_bcast:15 row_mask:0xf bank_mask:0xf
	v_add_u16_e32 v2, v2, v4
	s_nop 1
	v_mov_b32_dpp v4, v2 row_bcast:31 row_mask:0xf bank_mask:0xf
	v_add_u16_e32 v2, v2, v4
	ds_bpermute_b32 v2, v33, v2
	s_and_saveexec_b64 s[6:7], vcc
	s_cbranch_execz .LBB44_32
; %bb.31:                               ;   in Loop: Header=BB44_6 Depth=1
	s_waitcnt lgkmcnt(0)
	ds_write_b16 v31, v2
.LBB44_32:                              ;   in Loop: Header=BB44_6 Depth=1
	s_or_b64 exec, exec, s[6:7]
	s_waitcnt lgkmcnt(0)
	s_barrier
	s_and_saveexec_b64 s[6:7], s[0:1]
	s_cbranch_execz .LBB44_34
; %bb.33:                               ;   in Loop: Header=BB44_6 Depth=1
	v_and_b32_e32 v2, 7, v32
	v_lshlrev_b32_e32 v4, 1, v2
	ds_read_u16 v4, v4
	v_cmp_ne_u32_e32 vcc, 7, v2
	s_waitcnt lgkmcnt(0)
	v_and_b32_e32 v6, 0xffff, v4
	v_addc_co_u32_e32 v5, vcc, 0, v32, vcc
	v_lshlrev_b32_e32 v5, 2, v5
	ds_bpermute_b32 v5, v5, v6
	v_cmp_gt_u32_e32 vcc, 6, v2
	s_waitcnt lgkmcnt(0)
	v_add_u16_e32 v4, v4, v5
	v_cndmask_b32_e64 v6, 0, 1, vcc
	v_lshlrev_b32_e32 v6, 1, v6
	v_add_lshl_u32 v6, v6, v32, 2
	ds_bpermute_b32 v5, v6, v4
	v_cmp_gt_u32_e32 vcc, 4, v2
	s_waitcnt lgkmcnt(0)
	v_add_u16_e32 v4, v4, v5
	v_cndmask_b32_e64 v2, 0, 1, vcc
	v_lshlrev_b32_e32 v2, 2, v2
	v_add_lshl_u32 v2, v2, v32, 2
	ds_bpermute_b32 v2, v2, v4
	s_waitcnt lgkmcnt(0)
	v_add_u16_e32 v2, v4, v2
.LBB44_34:                              ;   in Loop: Header=BB44_6 Depth=1
	s_or_b64 exec, exec, s[6:7]
.LBB44_35:                              ;   in Loop: Header=BB44_6 Depth=1
	v_mov_b64_e32 v[4:5], 0x2001
	v_cmp_lt_i64_e32 vcc, s[16:17], v[4:5]
	v_add_u16_e32 v29, v2, v29
	s_cbranch_vccz .LBB44_5
; %bb.36:
                                        ; implicit-def: $sgpr24
                                        ; implicit-def: $sgpr16_sgpr17
                                        ; implicit-def: $sgpr21
                                        ; implicit-def: $vgpr14_vgpr15
	s_branch .LBB44_52
.LBB44_37:                              ;   in Loop: Header=BB44_6 Depth=1
	global_load_ushort v2, v[14:15], off
	v_mov_b32_e32 v4, v3
	v_mov_b32_e32 v5, v3
	;; [unrolled: 1-line block ×6, first 2 shown]
	s_waitcnt vmcnt(0)
	v_and_b32_e32 v2, 0xffff, v2
	v_mov_b64_e32 v[10:11], v[8:9]
	v_mov_b64_e32 v[8:9], v[6:7]
	v_mov_b64_e32 v[6:7], v[4:5]
	v_mov_b64_e32 v[4:5], v[2:3]
	s_or_b64 exec, exec, s[6:7]
	v_cmp_gt_u32_e32 vcc, s21, v1
	s_and_saveexec_b64 s[6:7], vcc
	s_cbranch_execz .LBB44_9
.LBB44_38:                              ;   in Loop: Header=BB44_6 Depth=1
	global_load_ushort v2, v[14:15], off offset:1024
	s_waitcnt vmcnt(0)
	v_perm_b32 v4, v2, v4, s22
	s_or_b64 exec, exec, s[6:7]
	v_cmp_gt_u32_e32 vcc, s21, v16
	s_and_saveexec_b64 s[6:7], vcc
	s_cbranch_execz .LBB44_10
.LBB44_39:                              ;   in Loop: Header=BB44_6 Depth=1
	global_load_ushort v2, v[14:15], off offset:2048
	s_waitcnt vmcnt(0)
	v_bfi_b32 v5, s23, v2, v5
	s_or_b64 exec, exec, s[6:7]
	v_cmp_gt_u32_e32 vcc, s21, v17
	s_and_saveexec_b64 s[6:7], vcc
	s_cbranch_execz .LBB44_11
.LBB44_40:                              ;   in Loop: Header=BB44_6 Depth=1
	global_load_ushort v2, v[14:15], off offset:3072
	s_waitcnt vmcnt(0)
	v_perm_b32 v5, v2, v5, s22
	s_or_b64 exec, exec, s[6:7]
	v_cmp_gt_u32_e32 vcc, s21, v18
	s_and_saveexec_b64 s[6:7], vcc
	s_cbranch_execz .LBB44_12
.LBB44_41:                              ;   in Loop: Header=BB44_6 Depth=1
	v_add_co_u32_e32 v34, vcc, 0x1000, v14
	s_nop 1
	v_addc_co_u32_e32 v35, vcc, 0, v15, vcc
	global_load_ushort v2, v[34:35], off
	s_waitcnt vmcnt(0)
	v_bfi_b32 v6, s23, v2, v6
	s_or_b64 exec, exec, s[6:7]
	v_cmp_gt_u32_e32 vcc, s21, v19
	s_and_saveexec_b64 s[6:7], vcc
	s_cbranch_execz .LBB44_13
.LBB44_42:                              ;   in Loop: Header=BB44_6 Depth=1
	v_add_co_u32_e32 v34, vcc, 0x1000, v14
	s_nop 1
	v_addc_co_u32_e32 v35, vcc, 0, v15, vcc
	global_load_ushort v2, v[34:35], off offset:1024
	s_waitcnt vmcnt(0)
	v_perm_b32 v6, v2, v6, s22
	s_or_b64 exec, exec, s[6:7]
	v_cmp_gt_u32_e32 vcc, s21, v20
	s_and_saveexec_b64 s[6:7], vcc
	s_cbranch_execz .LBB44_14
.LBB44_43:                              ;   in Loop: Header=BB44_6 Depth=1
	v_add_co_u32_e32 v34, vcc, 0x1000, v14
	s_nop 1
	v_addc_co_u32_e32 v35, vcc, 0, v15, vcc
	global_load_ushort v2, v[34:35], off offset:2048
	s_waitcnt vmcnt(0)
	v_bfi_b32 v7, s23, v2, v7
	s_or_b64 exec, exec, s[6:7]
	v_cmp_gt_u32_e32 vcc, s21, v21
	s_and_saveexec_b64 s[6:7], vcc
	s_cbranch_execz .LBB44_15
.LBB44_44:                              ;   in Loop: Header=BB44_6 Depth=1
	v_add_co_u32_e32 v34, vcc, 0x1000, v14
	s_nop 1
	v_addc_co_u32_e32 v35, vcc, 0, v15, vcc
	global_load_ushort v2, v[34:35], off offset:3072
	s_waitcnt vmcnt(0)
	v_perm_b32 v7, v2, v7, s22
	s_or_b64 exec, exec, s[6:7]
	v_cmp_gt_u32_e32 vcc, s21, v22
	s_and_saveexec_b64 s[6:7], vcc
	s_cbranch_execz .LBB44_16
.LBB44_45:                              ;   in Loop: Header=BB44_6 Depth=1
	v_add_co_u32_e32 v34, vcc, 0x2000, v14
	s_nop 1
	v_addc_co_u32_e32 v35, vcc, 0, v15, vcc
	global_load_ushort v2, v[34:35], off
	s_waitcnt vmcnt(0)
	v_bfi_b32 v8, s23, v2, v8
	s_or_b64 exec, exec, s[6:7]
	v_cmp_gt_u32_e32 vcc, s21, v23
	s_and_saveexec_b64 s[6:7], vcc
	s_cbranch_execz .LBB44_17
.LBB44_46:                              ;   in Loop: Header=BB44_6 Depth=1
	v_add_co_u32_e32 v34, vcc, 0x2000, v14
	s_nop 1
	v_addc_co_u32_e32 v35, vcc, 0, v15, vcc
	global_load_ushort v2, v[34:35], off offset:1024
	s_waitcnt vmcnt(0)
	v_perm_b32 v8, v2, v8, s22
	s_or_b64 exec, exec, s[6:7]
	v_cmp_gt_u32_e32 vcc, s21, v24
	s_and_saveexec_b64 s[6:7], vcc
	s_cbranch_execz .LBB44_18
.LBB44_47:                              ;   in Loop: Header=BB44_6 Depth=1
	v_add_co_u32_e32 v34, vcc, 0x2000, v14
	s_nop 1
	v_addc_co_u32_e32 v35, vcc, 0, v15, vcc
	global_load_ushort v2, v[34:35], off offset:2048
	s_waitcnt vmcnt(0)
	v_bfi_b32 v9, s23, v2, v9
	s_or_b64 exec, exec, s[6:7]
	v_cmp_gt_u32_e32 vcc, s21, v25
	s_and_saveexec_b64 s[6:7], vcc
	s_cbranch_execz .LBB44_19
.LBB44_48:                              ;   in Loop: Header=BB44_6 Depth=1
	v_add_co_u32_e32 v34, vcc, 0x2000, v14
	s_nop 1
	v_addc_co_u32_e32 v35, vcc, 0, v15, vcc
	global_load_ushort v2, v[34:35], off offset:3072
	s_waitcnt vmcnt(0)
	v_perm_b32 v9, v2, v9, s22
	s_or_b64 exec, exec, s[6:7]
	v_cmp_gt_u32_e32 vcc, s21, v26
	s_and_saveexec_b64 s[6:7], vcc
	s_cbranch_execz .LBB44_20
.LBB44_49:                              ;   in Loop: Header=BB44_6 Depth=1
	v_add_co_u32_e32 v34, vcc, 0x3000, v14
	s_nop 1
	v_addc_co_u32_e32 v35, vcc, 0, v15, vcc
	global_load_ushort v2, v[34:35], off
	s_waitcnt vmcnt(0)
	v_bfi_b32 v10, s23, v2, v10
	s_or_b64 exec, exec, s[6:7]
	v_cmp_gt_u32_e32 vcc, s21, v27
	s_and_saveexec_b64 s[6:7], vcc
	s_cbranch_execz .LBB44_21
.LBB44_50:                              ;   in Loop: Header=BB44_6 Depth=1
	v_add_co_u32_e32 v34, vcc, 0x3000, v14
	s_nop 1
	v_addc_co_u32_e32 v35, vcc, 0, v15, vcc
	global_load_ushort v2, v[34:35], off offset:1024
	s_waitcnt vmcnt(0)
	v_perm_b32 v10, v2, v10, s22
	s_or_b64 exec, exec, s[6:7]
	v_cmp_gt_u32_e32 vcc, s21, v28
	s_and_saveexec_b64 s[6:7], vcc
	s_cbranch_execz .LBB44_22
.LBB44_51:                              ;   in Loop: Header=BB44_6 Depth=1
	v_add_co_u32_e32 v34, vcc, 0x3000, v14
	s_nop 1
	v_addc_co_u32_e32 v35, vcc, 0, v15, vcc
	global_load_ushort v2, v[34:35], off offset:2048
	s_waitcnt vmcnt(0)
	v_bfi_b32 v11, s23, v2, v11
	s_or_b64 exec, exec, s[6:7]
	v_cmp_gt_u32_e32 vcc, s21, v30
	s_and_saveexec_b64 s[6:7], vcc
	s_cbranch_execnz .LBB44_23
	s_branch .LBB44_24
.LBB44_52:
	v_cmp_eq_u32_e32 vcc, 0, v0
	s_xor_b64 s[0:1], s[18:19], -1
	s_and_b64 s[0:1], vcc, s[0:1]
	s_and_saveexec_b64 s[4:5], s[0:1]
	s_cbranch_execz .LBB44_54
; %bb.53:
	s_lshl_b64 s[0:1], s[2:3], 1
	s_waitcnt lgkmcnt(0)
	s_add_u32 s0, s14, s0
	s_addc_u32 s1, s15, s1
	v_mov_b32_e32 v0, 0
	global_store_short v0, v29, s[0:1]
.LBB44_54:
	s_endpgm
	.section	.rodata,"a",@progbits
	.p2align	6, 0x0
	.amdhsa_kernel _ZN2at4cuda3cub15calc_block_sumsILi512ELi16ELb0EssEEvPKT2_PT3_li
		.amdhsa_group_segment_fixed_size 16
		.amdhsa_private_segment_fixed_size 0
		.amdhsa_kernarg_size 28
		.amdhsa_user_sgpr_count 2
		.amdhsa_user_sgpr_dispatch_ptr 0
		.amdhsa_user_sgpr_queue_ptr 0
		.amdhsa_user_sgpr_kernarg_segment_ptr 1
		.amdhsa_user_sgpr_dispatch_id 0
		.amdhsa_user_sgpr_kernarg_preload_length 0
		.amdhsa_user_sgpr_kernarg_preload_offset 0
		.amdhsa_user_sgpr_private_segment_size 0
		.amdhsa_uses_dynamic_stack 0
		.amdhsa_enable_private_segment 0
		.amdhsa_system_sgpr_workgroup_id_x 1
		.amdhsa_system_sgpr_workgroup_id_y 0
		.amdhsa_system_sgpr_workgroup_id_z 0
		.amdhsa_system_sgpr_workgroup_info 0
		.amdhsa_system_vgpr_workitem_id 0
		.amdhsa_next_free_vgpr 43
		.amdhsa_next_free_sgpr 25
		.amdhsa_accum_offset 44
		.amdhsa_reserve_vcc 1
		.amdhsa_float_round_mode_32 0
		.amdhsa_float_round_mode_16_64 0
		.amdhsa_float_denorm_mode_32 3
		.amdhsa_float_denorm_mode_16_64 3
		.amdhsa_dx10_clamp 1
		.amdhsa_ieee_mode 1
		.amdhsa_fp16_overflow 0
		.amdhsa_tg_split 0
		.amdhsa_exception_fp_ieee_invalid_op 0
		.amdhsa_exception_fp_denorm_src 0
		.amdhsa_exception_fp_ieee_div_zero 0
		.amdhsa_exception_fp_ieee_overflow 0
		.amdhsa_exception_fp_ieee_underflow 0
		.amdhsa_exception_fp_ieee_inexact 0
		.amdhsa_exception_int_div_zero 0
	.end_amdhsa_kernel
	.section	.text._ZN2at4cuda3cub15calc_block_sumsILi512ELi16ELb0EssEEvPKT2_PT3_li,"axG",@progbits,_ZN2at4cuda3cub15calc_block_sumsILi512ELi16ELb0EssEEvPKT2_PT3_li,comdat
.Lfunc_end44:
	.size	_ZN2at4cuda3cub15calc_block_sumsILi512ELi16ELb0EssEEvPKT2_PT3_li, .Lfunc_end44-_ZN2at4cuda3cub15calc_block_sumsILi512ELi16ELb0EssEEvPKT2_PT3_li
                                        ; -- End function
	.section	.AMDGPU.csdata,"",@progbits
; Kernel info:
; codeLenInByte = 2584
; NumSgprs: 31
; NumVgprs: 43
; NumAgprs: 0
; TotalNumVgprs: 43
; ScratchSize: 0
; MemoryBound: 0
; FloatMode: 240
; IeeeMode: 1
; LDSByteSize: 16 bytes/workgroup (compile time only)
; SGPRBlocks: 3
; VGPRBlocks: 5
; NumSGPRsForWavesPerEU: 31
; NumVGPRsForWavesPerEU: 43
; AccumOffset: 44
; Occupancy: 8
; WaveLimiterHint : 1
; COMPUTE_PGM_RSRC2:SCRATCH_EN: 0
; COMPUTE_PGM_RSRC2:USER_SGPR: 2
; COMPUTE_PGM_RSRC2:TRAP_HANDLER: 0
; COMPUTE_PGM_RSRC2:TGID_X_EN: 1
; COMPUTE_PGM_RSRC2:TGID_Y_EN: 0
; COMPUTE_PGM_RSRC2:TGID_Z_EN: 0
; COMPUTE_PGM_RSRC2:TIDIG_COMP_CNT: 0
; COMPUTE_PGM_RSRC3_GFX90A:ACCUM_OFFSET: 10
; COMPUTE_PGM_RSRC3_GFX90A:TG_SPLIT: 0
	.section	.text._ZN2at4cuda3cub17final_scan_kernelILi512ELi16EsEEvPKT1_PS3_S6_li,"axG",@progbits,_ZN2at4cuda3cub17final_scan_kernelILi512ELi16EsEEvPKT1_PS3_S6_li,comdat
	.protected	_ZN2at4cuda3cub17final_scan_kernelILi512ELi16EsEEvPKT1_PS3_S6_li ; -- Begin function _ZN2at4cuda3cub17final_scan_kernelILi512ELi16EsEEvPKT1_PS3_S6_li
	.globl	_ZN2at4cuda3cub17final_scan_kernelILi512ELi16EsEEvPKT1_PS3_S6_li
	.p2align	8
	.type	_ZN2at4cuda3cub17final_scan_kernelILi512ELi16EsEEvPKT1_PS3_S6_li,@function
_ZN2at4cuda3cub17final_scan_kernelILi512ELi16EsEEvPKT1_PS3_S6_li: ; @_ZN2at4cuda3cub17final_scan_kernelILi512ELi16EsEEvPKT1_PS3_S6_li
; %bb.0:
	s_load_dword s33, s[0:1], 0x20
	s_load_dwordx8 s[40:47], s[0:1], 0x0
	s_waitcnt lgkmcnt(0)
	s_lshl_b32 s3, s33, 13
	s_ashr_i32 s4, s3, 31
	s_mul_hi_u32 s5, s3, s2
	s_mul_i32 s4, s4, s2
	s_add_i32 s31, s5, s4
	s_mul_i32 s30, s3, s2
	s_sub_u32 s48, s46, s30
	s_subb_u32 s49, s47, s31
	v_cmp_lt_i64_e64 s[4:5], s[48:49], 1
	s_and_b64 vcc, exec, s[4:5]
	s_cbranch_vccnz .LBB45_98
; %bb.1:
	v_cmp_gt_u32_e32 vcc, s2, v0
	v_mov_b32_e32 v4, 0
	v_lshlrev_b32_e32 v22, 1, v0
	s_and_saveexec_b64 s[4:5], vcc
	s_cbranch_execz .LBB45_3
; %bb.2:
	global_load_ushort v4, v22, s[44:45]
.LBB45_3:
	s_or_b64 exec, exec, s[4:5]
	s_load_dword s0, s[0:1], 0x34
	s_waitcnt lgkmcnt(0)
	s_and_b32 s3, s0, 0xffff
	v_add_u32_e32 v2, s3, v0
	v_cmp_gt_u32_e32 vcc, s2, v2
	s_and_saveexec_b64 s[0:1], vcc
	s_cbranch_execz .LBB45_7
; %bb.4:
	s_mov_b64 s[4:5], 0
	v_mov_b32_e32 v3, 0
.LBB45_5:                               ; =>This Inner Loop Header: Depth=1
	v_lshl_add_u64 v[6:7], v[2:3], 1, s[44:45]
	global_load_ushort v1, v[6:7], off
	v_add_u32_e32 v2, s3, v2
	v_cmp_le_u32_e32 vcc, s2, v2
	s_or_b64 s[4:5], vcc, s[4:5]
	s_waitcnt vmcnt(0)
	v_add_u16_e32 v4, v1, v4
	s_andn2_b64 exec, exec, s[4:5]
	s_cbranch_execnz .LBB45_5
; %bb.6:
	s_or_b64 exec, exec, s[4:5]
.LBB45_7:
	s_or_b64 exec, exec, s[0:1]
	s_waitcnt vmcnt(0)
	v_and_b32_e32 v2, 0xffff, v4
	v_mbcnt_lo_u32_b32 v1, -1, 0
	v_mbcnt_hi_u32_b32 v1, -1, v1
	v_mov_b32_dpp v2, v2 quad_perm:[1,0,3,2] row_mask:0xf bank_mask:0xf
	v_add_u16_e32 v2, v4, v2
	v_cmp_eq_u32_e64 s[0:1], 0, v1
	s_nop 0
	v_mov_b32_dpp v3, v2 quad_perm:[2,3,0,1] row_mask:0xf bank_mask:0xf
	v_add_u16_e32 v2, v2, v3
	s_nop 1
	v_mov_b32_dpp v3, v2 row_ror:4 row_mask:0xf bank_mask:0xf
	v_add_u16_e32 v2, v2, v3
	s_nop 1
	v_mov_b32_dpp v3, v2 row_ror:8 row_mask:0xf bank_mask:0xf
	v_add_u16_e32 v2, v2, v3
	s_nop 1
	v_mov_b32_dpp v3, v2 row_bcast:15 row_mask:0xf bank_mask:0xf
	v_add_u16_e32 v2, v2, v3
	s_nop 1
	v_mov_b32_dpp v3, v2 row_bcast:31 row_mask:0xf bank_mask:0xf
	v_add_u16_e32 v2, v2, v3
	v_bfrev_b32_e32 v3, 0.5
	v_lshl_or_b32 v3, v1, 2, v3
	ds_bpermute_b32 v23, v3, v2
	s_and_saveexec_b64 s[4:5], s[0:1]
	s_cbranch_execz .LBB45_9
; %bb.8:
	v_lshrrev_b32_e32 v2, 5, v0
	v_and_b32_e32 v2, 30, v2
	s_waitcnt lgkmcnt(0)
	ds_write_b16 v2, v23
.LBB45_9:
	s_or_b64 exec, exec, s[4:5]
	v_cmp_lt_u32_e64 s[34:35], 63, v0
	v_cmp_gt_u32_e64 s[4:5], 64, v0
	v_and_b32_e32 v2, 7, v1
	s_waitcnt lgkmcnt(0)
	s_barrier
	s_and_saveexec_b64 s[6:7], s[4:5]
	s_cbranch_execz .LBB45_11
; %bb.10:
	v_lshlrev_b32_e32 v3, 1, v2
	ds_read_u16 v3, v3
	v_cmp_ne_u32_e32 vcc, 7, v2
	s_waitcnt lgkmcnt(0)
	v_and_b32_e32 v5, 0xffff, v3
	v_addc_co_u32_e32 v4, vcc, 0, v1, vcc
	v_lshlrev_b32_e32 v4, 2, v4
	ds_bpermute_b32 v4, v4, v5
	v_cmp_gt_u32_e32 vcc, 6, v2
	s_waitcnt lgkmcnt(0)
	v_add_u16_e32 v3, v3, v4
	v_cndmask_b32_e64 v5, 0, 1, vcc
	v_lshlrev_b32_e32 v5, 1, v5
	v_add_lshl_u32 v5, v5, v1, 2
	ds_bpermute_b32 v4, v5, v3
	v_cmp_gt_u32_e32 vcc, 4, v2
	s_waitcnt lgkmcnt(0)
	v_add_u16_e32 v3, v3, v4
	v_cndmask_b32_e64 v5, 0, 1, vcc
	v_lshlrev_b32_e32 v5, 2, v5
	v_add_lshl_u32 v4, v5, v1, 2
	ds_bpermute_b32 v4, v4, v3
	s_waitcnt lgkmcnt(0)
	v_add_u16_e32 v23, v3, v4
.LBB45_11:
	s_or_b64 exec, exec, s[6:7]
	s_cmp_lt_i32 s33, 1
	s_barrier
	s_cbranch_scc1 .LBB45_98
; %bb.12:
	v_lshlrev_b32_e32 v3, 4, v0
	s_movk_i32 s3, 0x3c00
	v_and_or_b32 v24, v3, s3, v1
	v_lshrrev_b32_e32 v3, 5, v24
	v_add_u32_e32 v25, 64, v24
	v_and_b32_e32 v3, 0x1e2, v3
	v_add_lshl_u32 v40, v3, v24, 1
	v_lshrrev_b32_e32 v3, 5, v25
	v_or_b32_e32 v26, 0x80, v24
	v_and_b32_e32 v3, 0x1e6, v3
	v_add_lshl_u32 v41, v3, v25, 1
	v_lshrrev_b32_e32 v3, 5, v26
	v_add_u32_e32 v27, 0xc0, v24
	v_and_b32_e32 v3, 0x1e6, v3
	v_add_lshl_u32 v42, v3, v26, 1
	v_lshrrev_b32_e32 v3, 5, v27
	v_or_b32_e32 v28, 0x100, v24
	v_and_b32_e32 v3, 0x1ee, v3
	v_add_lshl_u32 v43, v3, v27, 1
	;; [unrolled: 8-line block ×7, first 2 shown]
	v_lshrrev_b32_e32 v3, 5, v38
	v_add_u32_e32 v39, 0x3c0, v24
	v_and_b32_e32 v3, 0x1fe, v3
	v_add_lshl_u32 v54, v3, v38, 1
	v_lshrrev_b32_e32 v3, 5, v39
	v_and_b32_e32 v3, 0x3fe, v3
	v_add_lshl_u32 v55, v3, v39, 1
	v_and_b32_e32 v3, 0x3c0, v0
	v_add_u16_e32 v5, v1, v3
	v_lshrrev_b16_e32 v5, 1, v5
	v_add_lshl_u32 v4, v1, v3, 4
	v_and_b32_e32 v5, 0x3fe, v5
	v_min_u32_e32 v3, 0x1c0, v3
	v_add_lshl_u32 v56, v5, v4, 1
	v_and_b32_e32 v4, 15, v1
	v_or_b32_e32 v3, 63, v3
	v_cmp_eq_u32_e64 s[6:7], 0, v4
	v_cmp_lt_u32_e64 s[8:9], 1, v4
	v_cmp_lt_u32_e64 s[10:11], 3, v4
	;; [unrolled: 1-line block ×3, first 2 shown]
	v_and_b32_e32 v4, 16, v1
	v_cmp_eq_u32_e64 s[18:19], v3, v0
	v_cmp_eq_u32_e64 s[22:23], 0, v2
	v_cmp_lt_u32_e64 s[24:25], 1, v2
	v_cmp_lt_u32_e64 s[26:27], 3, v2
	v_add_u32_e32 v2, -1, v1
	v_and_b32_e32 v3, 64, v1
	v_cmp_eq_u32_e64 s[14:15], 0, v4
	v_lshrrev_b32_e32 v4, 6, v0
	v_cmp_lt_i32_e32 vcc, v2, v3
	v_cmp_lt_u32_e64 s[16:17], 31, v1
	v_cmp_gt_u32_e64 s[20:21], 8, v0
	v_cndmask_b32_e32 v2, v2, v1, vcc
	v_cmp_eq_u32_e64 s[28:29], 0, v0
	v_lshlrev_b32_e32 v10, 1, v1
	v_mov_b32_e32 v1, 0
	v_lshlrev_b32_e32 v0, 11, v4
	v_lshlrev_b32_e32 v59, 2, v2
	v_lshl_add_u64 v[2:3], s[30:31], 1, v[0:1]
	s_mul_i32 s2, s2, s33
	v_lshlrev_b32_e32 v57, 1, v4
	v_lshl_add_u64 v[4:5], v[2:3], 0, s[42:43]
	s_mov_b64 s[30:31], 0x780
	s_lshl_b32 s2, s2, 13
	s_mov_b32 s36, 0
	v_add_u32_e32 v58, -2, v57
	v_mov_b32_e32 v11, v1
	v_lshl_add_u64 v[14:15], v[4:5], 0, s[30:31]
	v_lshl_add_u64 v[18:19], s[40:41], 0, v[2:3]
	s_sub_i32 s46, s46, s2
	v_mov_b64_e32 v[12:13], 0x2000
	v_mov_b64_e32 v[16:17], 0x1fff
	s_mov_b32 s44, 0x5040100
	s_mov_b32 s45, 0xffff
	s_mov_b64 s[2:3], 0x4000
	s_branch .LBB45_14
.LBB45_13:                              ;   in Loop: Header=BB45_14 Depth=1
	s_add_u32 s48, s48, 0xffffe000
	s_addc_u32 s49, s49, -1
	s_add_i32 s33, s33, -1
	s_addk_i32 s46, 0xe000
	s_cmp_eq_u32 s33, 0
	v_lshl_add_u64 v[14:15], v[14:15], 0, s[2:3]
	v_lshl_add_u64 v[18:19], v[18:19], 0, s[2:3]
	s_cselect_b64 s[30:31], -1, 0
	s_waitcnt lgkmcnt(0)
	s_barrier
	s_andn2_b64 vcc, exec, s[30:31]
	s_cbranch_vccz .LBB45_98
.LBB45_14:                              ; =>This Inner Loop Header: Depth=1
	v_cmp_gt_i64_e32 vcc, s[48:49], v[16:17]
	s_mov_b64 s[38:39], -1
	v_cmp_gt_u32_e64 s[30:31], s46, v24
	s_cbranch_vccnz .LBB45_33
; %bb.15:                               ;   in Loop: Header=BB45_14 Depth=1
	s_mov_b32 s37, s36
	s_mov_b32 s38, s36
	;; [unrolled: 1-line block ×7, first 2 shown]
	v_mov_b64_e32 v[2:3], s[36:37]
	v_lshl_add_u64 v[20:21], v[18:19], 0, v[10:11]
	v_mov_b64_e32 v[4:5], s[38:39]
	v_mov_b64_e32 v[6:7], s[40:41]
	;; [unrolled: 1-line block ×3, first 2 shown]
	s_and_saveexec_b64 s[38:39], s[30:31]
	s_cbranch_execnz .LBB45_83
; %bb.16:                               ;   in Loop: Header=BB45_14 Depth=1
	s_or_b64 exec, exec, s[38:39]
	v_cmp_gt_u32_e32 vcc, s46, v25
	s_and_saveexec_b64 s[30:31], vcc
	s_cbranch_execnz .LBB45_84
.LBB45_17:                              ;   in Loop: Header=BB45_14 Depth=1
	s_or_b64 exec, exec, s[30:31]
	v_cmp_gt_u32_e32 vcc, s46, v26
	s_and_saveexec_b64 s[30:31], vcc
	s_cbranch_execnz .LBB45_85
.LBB45_18:                              ;   in Loop: Header=BB45_14 Depth=1
	s_or_b64 exec, exec, s[30:31]
	v_cmp_gt_u32_e32 vcc, s46, v27
	s_and_saveexec_b64 s[30:31], vcc
	s_cbranch_execnz .LBB45_86
.LBB45_19:                              ;   in Loop: Header=BB45_14 Depth=1
	s_or_b64 exec, exec, s[30:31]
	v_cmp_gt_u32_e32 vcc, s46, v28
	s_and_saveexec_b64 s[30:31], vcc
	s_cbranch_execnz .LBB45_87
.LBB45_20:                              ;   in Loop: Header=BB45_14 Depth=1
	s_or_b64 exec, exec, s[30:31]
	v_cmp_gt_u32_e32 vcc, s46, v29
	s_and_saveexec_b64 s[30:31], vcc
	s_cbranch_execnz .LBB45_88
.LBB45_21:                              ;   in Loop: Header=BB45_14 Depth=1
	s_or_b64 exec, exec, s[30:31]
	v_cmp_gt_u32_e32 vcc, s46, v30
	s_and_saveexec_b64 s[30:31], vcc
	s_cbranch_execnz .LBB45_89
.LBB45_22:                              ;   in Loop: Header=BB45_14 Depth=1
	s_or_b64 exec, exec, s[30:31]
	v_cmp_gt_u32_e32 vcc, s46, v31
	s_and_saveexec_b64 s[30:31], vcc
	s_cbranch_execnz .LBB45_90
.LBB45_23:                              ;   in Loop: Header=BB45_14 Depth=1
	s_or_b64 exec, exec, s[30:31]
	v_cmp_gt_u32_e32 vcc, s46, v32
	s_and_saveexec_b64 s[30:31], vcc
	s_cbranch_execnz .LBB45_91
.LBB45_24:                              ;   in Loop: Header=BB45_14 Depth=1
	s_or_b64 exec, exec, s[30:31]
	v_cmp_gt_u32_e32 vcc, s46, v33
	s_and_saveexec_b64 s[30:31], vcc
	s_cbranch_execnz .LBB45_92
.LBB45_25:                              ;   in Loop: Header=BB45_14 Depth=1
	s_or_b64 exec, exec, s[30:31]
	v_cmp_gt_u32_e32 vcc, s46, v34
	s_and_saveexec_b64 s[30:31], vcc
	s_cbranch_execnz .LBB45_93
.LBB45_26:                              ;   in Loop: Header=BB45_14 Depth=1
	s_or_b64 exec, exec, s[30:31]
	v_cmp_gt_u32_e32 vcc, s46, v35
	s_and_saveexec_b64 s[30:31], vcc
	s_cbranch_execnz .LBB45_94
.LBB45_27:                              ;   in Loop: Header=BB45_14 Depth=1
	s_or_b64 exec, exec, s[30:31]
	v_cmp_gt_u32_e32 vcc, s46, v36
	s_and_saveexec_b64 s[30:31], vcc
	s_cbranch_execnz .LBB45_95
.LBB45_28:                              ;   in Loop: Header=BB45_14 Depth=1
	s_or_b64 exec, exec, s[30:31]
	v_cmp_gt_u32_e32 vcc, s46, v37
	s_and_saveexec_b64 s[30:31], vcc
	s_cbranch_execnz .LBB45_96
.LBB45_29:                              ;   in Loop: Header=BB45_14 Depth=1
	s_or_b64 exec, exec, s[30:31]
	v_cmp_gt_u32_e32 vcc, s46, v38
	s_and_saveexec_b64 s[30:31], vcc
	s_cbranch_execnz .LBB45_97
.LBB45_30:                              ;   in Loop: Header=BB45_14 Depth=1
	s_or_b64 exec, exec, s[30:31]
	v_cmp_gt_u32_e32 vcc, s46, v39
	s_and_saveexec_b64 s[30:31], vcc
	s_cbranch_execz .LBB45_32
.LBB45_31:                              ;   in Loop: Header=BB45_14 Depth=1
	s_waitcnt lgkmcnt(0)
	global_load_ushort v0, v[20:21], off offset:1920
	s_waitcnt vmcnt(0)
	v_perm_b32 v9, v0, v9, s44
.LBB45_32:                              ;   in Loop: Header=BB45_14 Depth=1
	s_or_b64 exec, exec, s[30:31]
	s_mov_b64 s[38:39], 0
	ds_write_b16 v40, v2
	ds_write_b16_d16_hi v41, v2
	ds_write_b16 v42, v3
	ds_write_b16_d16_hi v43, v3
	;; [unrolled: 2-line block ×8, first 2 shown]
	; wave barrier
.LBB45_33:                              ;   in Loop: Header=BB45_14 Depth=1
	s_and_b64 vcc, exec, s[38:39]
	s_cbranch_vccz .LBB45_35
; %bb.34:                               ;   in Loop: Header=BB45_14 Depth=1
	v_lshl_add_u64 v[2:3], v[18:19], 0, v[10:11]
	s_waitcnt lgkmcnt(0)
	global_load_ushort v0, v[2:3], off
	global_load_ushort v4, v[2:3], off offset:128
	global_load_ushort v5, v[2:3], off offset:256
	;; [unrolled: 1-line block ×14, first 2 shown]
	s_nop 0
	global_load_ushort v2, v[2:3], off offset:1920
	s_waitcnt vmcnt(15)
	ds_write_b16 v40, v0
	s_waitcnt vmcnt(14)
	ds_write_b16 v41, v4
	;; [unrolled: 2-line block ×16, first 2 shown]
	; wave barrier
.LBB45_35:                              ;   in Loop: Header=BB45_14 Depth=1
	ds_read_b128 v[6:9], v56
	ds_read_b128 v[2:5], v56 offset:16
	s_waitcnt lgkmcnt(0)
	s_barrier
	v_add_u16_sdwa v0, v6, v6 dst_sel:DWORD dst_unused:UNUSED_PAD src0_sel:WORD_1 src1_sel:DWORD
	v_add_u16_e32 v0, v0, v7
	v_add_u16_sdwa v0, v0, v7 dst_sel:DWORD dst_unused:UNUSED_PAD src0_sel:DWORD src1_sel:WORD_1
	v_add_u16_e32 v0, v0, v8
	v_add_u16_sdwa v0, v0, v8 dst_sel:DWORD dst_unused:UNUSED_PAD src0_sel:DWORD src1_sel:WORD_1
	v_add_u16_e32 v0, v0, v9
	v_add_u16_sdwa v0, v0, v9 dst_sel:DWORD dst_unused:UNUSED_PAD src0_sel:DWORD src1_sel:WORD_1
	v_add_u16_e32 v0, v0, v2
	v_add_u16_sdwa v0, v0, v2 dst_sel:DWORD dst_unused:UNUSED_PAD src0_sel:DWORD src1_sel:WORD_1
	v_add_u16_e32 v0, v0, v3
	v_add_u16_sdwa v0, v0, v3 dst_sel:DWORD dst_unused:UNUSED_PAD src0_sel:DWORD src1_sel:WORD_1
	v_add_u16_e32 v0, v0, v4
	v_add_u16_sdwa v0, v0, v4 dst_sel:DWORD dst_unused:UNUSED_PAD src0_sel:DWORD src1_sel:WORD_1
	v_add_u16_e32 v0, v0, v5
	v_add_u16_sdwa v0, v0, v5 dst_sel:DWORD dst_unused:UNUSED_PAD src0_sel:DWORD src1_sel:WORD_1
	s_nop 1
	v_mov_b32_dpp v20, v0 row_shr:1 row_mask:0xf bank_mask:0xf
	v_cndmask_b32_e64 v20, v20, 0, s[6:7]
	v_add_u16_e32 v0, v0, v20
	s_nop 1
	v_mov_b32_dpp v20, v0 row_shr:2 row_mask:0xf bank_mask:0xf
	v_cndmask_b32_e64 v20, 0, v20, s[8:9]
	v_add_u16_e32 v0, v0, v20
	;; [unrolled: 4-line block ×4, first 2 shown]
	s_nop 1
	v_mov_b32_dpp v20, v0 row_bcast:15 row_mask:0xf bank_mask:0xf
	v_cndmask_b32_e64 v20, v20, 0, s[14:15]
	v_add_u16_e32 v0, v0, v20
	s_nop 1
	v_mov_b32_dpp v20, v0 row_bcast:31 row_mask:0xf bank_mask:0xf
	v_cndmask_b32_e64 v20, 0, v20, s[16:17]
	v_add_u16_e32 v0, v0, v20
	s_and_saveexec_b64 s[30:31], s[18:19]
	s_cbranch_execz .LBB45_37
; %bb.36:                               ;   in Loop: Header=BB45_14 Depth=1
	ds_write_b16 v57, v0
.LBB45_37:                              ;   in Loop: Header=BB45_14 Depth=1
	s_or_b64 exec, exec, s[30:31]
	s_waitcnt lgkmcnt(0)
	s_barrier
	s_and_saveexec_b64 s[30:31], s[20:21]
	s_cbranch_execz .LBB45_39
; %bb.38:                               ;   in Loop: Header=BB45_14 Depth=1
	ds_read_u16 v20, v22
	s_waitcnt lgkmcnt(0)
	v_and_b32_e32 v21, 0xffff, v20
	s_nop 1
	v_mov_b32_dpp v21, v21 row_shr:1 row_mask:0xf bank_mask:0xf
	v_cndmask_b32_e64 v21, v21, 0, s[22:23]
	v_add_u16_e32 v20, v21, v20
	s_nop 1
	v_mov_b32_dpp v21, v20 row_shr:2 row_mask:0xf bank_mask:0xf
	v_cndmask_b32_e64 v21, 0, v21, s[24:25]
	v_add_u16_e32 v20, v20, v21
	;; [unrolled: 4-line block ×3, first 2 shown]
	ds_write_b16 v22, v20
.LBB45_39:                              ;   in Loop: Header=BB45_14 Depth=1
	s_or_b64 exec, exec, s[30:31]
	s_waitcnt lgkmcnt(0)
	s_barrier
	s_waitcnt lgkmcnt(0)
                                        ; implicit-def: $vgpr20
	s_and_saveexec_b64 s[30:31], s[34:35]
	s_cbranch_execz .LBB45_41
; %bb.40:                               ;   in Loop: Header=BB45_14 Depth=1
	ds_read_u16 v20, v58
	s_waitcnt lgkmcnt(0)
	v_add_u16_e32 v0, v20, v0
.LBB45_41:                              ;   in Loop: Header=BB45_14 Depth=1
	s_or_b64 exec, exec, s[30:31]
	v_and_b32_e32 v0, 0xffff, v0
	ds_bpermute_b32 v0, v59, v0
	s_and_saveexec_b64 s[30:31], s[4:5]
	s_cbranch_execz .LBB45_45
; %bb.42:                               ;   in Loop: Header=BB45_14 Depth=1
	ds_read_u16 v21, v1 offset:14
	s_and_saveexec_b64 s[38:39], s[28:29]
	s_cbranch_execz .LBB45_44
; %bb.43:                               ;   in Loop: Header=BB45_14 Depth=1
	ds_write_b16 v1, v23 offset:14
.LBB45_44:                              ;   in Loop: Header=BB45_14 Depth=1
	s_or_b64 exec, exec, s[38:39]
	s_waitcnt lgkmcnt(0)
	v_add_u16_e32 v23, v21, v23
.LBB45_45:                              ;   in Loop: Header=BB45_14 Depth=1
	s_or_b64 exec, exec, s[30:31]
	s_waitcnt lgkmcnt(0)
	s_barrier
	ds_read_u16 v21, v1 offset:14
	v_cndmask_b32_e64 v0, v0, v20, s[0:1]
	v_cndmask_b32_e64 v0, v0, 0, s[28:29]
	v_add_u16_e32 v0, v0, v6
	v_cmp_lt_i64_e32 vcc, s[48:49], v[12:13]
	s_waitcnt lgkmcnt(0)
	v_add_u16_e32 v0, v0, v21
	v_add_u16_sdwa v6, v0, v6 dst_sel:DWORD dst_unused:UNUSED_PAD src0_sel:DWORD src1_sel:WORD_1
	v_add_u16_e32 v20, v6, v7
	v_add_u16_sdwa v7, v20, v7 dst_sel:DWORD dst_unused:UNUSED_PAD src0_sel:DWORD src1_sel:WORD_1
	;; [unrolled: 2-line block ×8, first 2 shown]
	s_and_b64 vcc, exec, vcc
	v_perm_b32 v9, v9, v60, s44
	v_perm_b32 v8, v8, v21, s44
	;; [unrolled: 1-line block ×8, first 2 shown]
	v_lshl_add_u64 v[20:21], v[14:15], 0, v[10:11]
	s_barrier
	s_cbranch_vccz .LBB45_68
; %bb.46:                               ;   in Loop: Header=BB45_14 Depth=1
	ds_write_b128 v56, v[6:9]
	ds_write_b128 v56, v[2:5] offset:16
	; wave barrier
	ds_read_u16 v74, v40
	ds_read_u16 v73, v41
	;; [unrolled: 1-line block ×16, first 2 shown]
	v_cmp_gt_u32_e32 vcc, s46, v24
	s_and_saveexec_b64 s[30:31], vcc
	s_cbranch_execnz .LBB45_69
; %bb.47:                               ;   in Loop: Header=BB45_14 Depth=1
	s_or_b64 exec, exec, s[30:31]
	v_cmp_gt_u32_e32 vcc, s46, v25
	s_and_saveexec_b64 s[30:31], vcc
	s_cbranch_execnz .LBB45_70
.LBB45_48:                              ;   in Loop: Header=BB45_14 Depth=1
	s_or_b64 exec, exec, s[30:31]
	v_cmp_gt_u32_e32 vcc, s46, v26
	s_and_saveexec_b64 s[30:31], vcc
	s_cbranch_execnz .LBB45_71
.LBB45_49:                              ;   in Loop: Header=BB45_14 Depth=1
	s_or_b64 exec, exec, s[30:31]
	v_cmp_gt_u32_e32 vcc, s46, v27
	s_and_saveexec_b64 s[30:31], vcc
	s_cbranch_execnz .LBB45_72
.LBB45_50:                              ;   in Loop: Header=BB45_14 Depth=1
	s_or_b64 exec, exec, s[30:31]
	v_cmp_gt_u32_e32 vcc, s46, v28
	s_and_saveexec_b64 s[30:31], vcc
	s_cbranch_execnz .LBB45_73
.LBB45_51:                              ;   in Loop: Header=BB45_14 Depth=1
	s_or_b64 exec, exec, s[30:31]
	v_cmp_gt_u32_e32 vcc, s46, v29
	s_and_saveexec_b64 s[30:31], vcc
	s_cbranch_execnz .LBB45_74
.LBB45_52:                              ;   in Loop: Header=BB45_14 Depth=1
	s_or_b64 exec, exec, s[30:31]
	v_cmp_gt_u32_e32 vcc, s46, v30
	s_and_saveexec_b64 s[30:31], vcc
	s_cbranch_execnz .LBB45_75
.LBB45_53:                              ;   in Loop: Header=BB45_14 Depth=1
	s_or_b64 exec, exec, s[30:31]
	v_cmp_gt_u32_e32 vcc, s46, v31
	s_and_saveexec_b64 s[30:31], vcc
	s_cbranch_execnz .LBB45_76
.LBB45_54:                              ;   in Loop: Header=BB45_14 Depth=1
	s_or_b64 exec, exec, s[30:31]
	v_cmp_gt_u32_e32 vcc, s46, v32
	s_and_saveexec_b64 s[30:31], vcc
	s_cbranch_execnz .LBB45_77
.LBB45_55:                              ;   in Loop: Header=BB45_14 Depth=1
	s_or_b64 exec, exec, s[30:31]
	v_cmp_gt_u32_e32 vcc, s46, v33
	s_and_saveexec_b64 s[30:31], vcc
	s_cbranch_execnz .LBB45_78
.LBB45_56:                              ;   in Loop: Header=BB45_14 Depth=1
	s_or_b64 exec, exec, s[30:31]
	v_cmp_gt_u32_e32 vcc, s46, v34
	s_and_saveexec_b64 s[30:31], vcc
	s_cbranch_execnz .LBB45_79
.LBB45_57:                              ;   in Loop: Header=BB45_14 Depth=1
	s_or_b64 exec, exec, s[30:31]
	v_cmp_gt_u32_e32 vcc, s46, v35
	s_and_saveexec_b64 s[30:31], vcc
	s_cbranch_execnz .LBB45_80
.LBB45_58:                              ;   in Loop: Header=BB45_14 Depth=1
	s_or_b64 exec, exec, s[30:31]
	v_cmp_gt_u32_e32 vcc, s46, v36
	s_and_saveexec_b64 s[30:31], vcc
	s_cbranch_execnz .LBB45_81
.LBB45_59:                              ;   in Loop: Header=BB45_14 Depth=1
	s_or_b64 exec, exec, s[30:31]
	v_cmp_gt_u32_e32 vcc, s46, v37
	s_and_saveexec_b64 s[30:31], vcc
	s_cbranch_execnz .LBB45_82
.LBB45_60:                              ;   in Loop: Header=BB45_14 Depth=1
	s_or_b64 exec, exec, s[30:31]
	v_cmp_gt_u32_e32 vcc, s46, v38
	s_and_saveexec_b64 s[30:31], vcc
	s_cbranch_execz .LBB45_62
.LBB45_61:                              ;   in Loop: Header=BB45_14 Depth=1
	s_waitcnt lgkmcnt(1)
	global_store_short v[20:21], v60, off offset:-128
.LBB45_62:                              ;   in Loop: Header=BB45_14 Depth=1
	s_or_b64 exec, exec, s[30:31]
	v_cmp_gt_u32_e64 s[30:31], s46, v39
	s_branch .LBB45_64
.LBB45_63:                              ;   in Loop: Header=BB45_14 Depth=1
	ds_write_b128 v56, v[6:9]
	ds_write_b128 v56, v[2:5] offset:16
	; wave barrier
	ds_read_u16 v2, v40
	ds_read_u16 v3, v41
	;; [unrolled: 1-line block ×8, first 2 shown]
	s_waitcnt lgkmcnt(11)
	ds_read_u16 v60, v48
	ds_read_u16 v61, v49
	;; [unrolled: 1-line block ×7, first 2 shown]
	s_waitcnt lgkmcnt(14)
	ds_read_u16 v0, v55
	s_or_b64 s[30:31], s[30:31], exec
	global_store_short v[20:21], v2, off offset:-1920
	s_waitcnt lgkmcnt(14)
	global_store_short v[20:21], v3, off offset:-1792
	s_waitcnt lgkmcnt(13)
	;; [unrolled: 2-line block ×14, first 2 shown]
	global_store_short v[20:21], v66, off offset:-128
.LBB45_64:                              ;   in Loop: Header=BB45_14 Depth=1
	s_and_saveexec_b64 s[38:39], s[30:31]
	s_cbranch_execz .LBB45_66
; %bb.65:                               ;   in Loop: Header=BB45_14 Depth=1
	s_waitcnt lgkmcnt(0)
	global_store_short v[20:21], v0, off
.LBB45_66:                              ;   in Loop: Header=BB45_14 Depth=1
	s_or_b64 exec, exec, s[38:39]
	v_mov_b64_e32 v[2:3], 0x2001
	v_cmp_lt_i64_e32 vcc, s[48:49], v[2:3]
	s_cbranch_vccz .LBB45_13
; %bb.67:
                                        ; implicit-def: $vgpr23
                                        ; implicit-def: $sgpr48_sgpr49
                                        ; implicit-def: $sgpr33
                                        ; implicit-def: $vgpr14_vgpr15
                                        ; implicit-def: $vgpr18_vgpr19
                                        ; implicit-def: $sgpr46
	s_branch .LBB45_98
.LBB45_68:                              ;   in Loop: Header=BB45_14 Depth=1
	s_mov_b64 s[30:31], 0
                                        ; implicit-def: $vgpr0
	s_cbranch_execnz .LBB45_63
	s_branch .LBB45_64
.LBB45_69:                              ;   in Loop: Header=BB45_14 Depth=1
	s_waitcnt lgkmcnt(14)
	global_store_short v[20:21], v74, off offset:-1920
	s_or_b64 exec, exec, s[30:31]
	v_cmp_gt_u32_e32 vcc, s46, v25
	s_and_saveexec_b64 s[30:31], vcc
	s_cbranch_execz .LBB45_48
.LBB45_70:                              ;   in Loop: Header=BB45_14 Depth=1
	s_waitcnt lgkmcnt(14)
	global_store_short v[20:21], v73, off offset:-1792
	s_or_b64 exec, exec, s[30:31]
	v_cmp_gt_u32_e32 vcc, s46, v26
	s_and_saveexec_b64 s[30:31], vcc
	s_cbranch_execz .LBB45_49
.LBB45_71:                              ;   in Loop: Header=BB45_14 Depth=1
	s_waitcnt lgkmcnt(13)
	global_store_short v[20:21], v72, off offset:-1664
	s_or_b64 exec, exec, s[30:31]
	v_cmp_gt_u32_e32 vcc, s46, v27
	s_and_saveexec_b64 s[30:31], vcc
	s_cbranch_execz .LBB45_50
.LBB45_72:                              ;   in Loop: Header=BB45_14 Depth=1
	s_waitcnt lgkmcnt(12)
	global_store_short v[20:21], v71, off offset:-1536
	s_or_b64 exec, exec, s[30:31]
	v_cmp_gt_u32_e32 vcc, s46, v28
	s_and_saveexec_b64 s[30:31], vcc
	s_cbranch_execz .LBB45_51
.LBB45_73:                              ;   in Loop: Header=BB45_14 Depth=1
	s_waitcnt lgkmcnt(11)
	global_store_short v[20:21], v70, off offset:-1408
	s_or_b64 exec, exec, s[30:31]
	v_cmp_gt_u32_e32 vcc, s46, v29
	s_and_saveexec_b64 s[30:31], vcc
	s_cbranch_execz .LBB45_52
.LBB45_74:                              ;   in Loop: Header=BB45_14 Depth=1
	s_waitcnt lgkmcnt(10)
	global_store_short v[20:21], v69, off offset:-1280
	s_or_b64 exec, exec, s[30:31]
	v_cmp_gt_u32_e32 vcc, s46, v30
	s_and_saveexec_b64 s[30:31], vcc
	s_cbranch_execz .LBB45_53
.LBB45_75:                              ;   in Loop: Header=BB45_14 Depth=1
	s_waitcnt lgkmcnt(9)
	global_store_short v[20:21], v68, off offset:-1152
	s_or_b64 exec, exec, s[30:31]
	v_cmp_gt_u32_e32 vcc, s46, v31
	s_and_saveexec_b64 s[30:31], vcc
	s_cbranch_execz .LBB45_54
.LBB45_76:                              ;   in Loop: Header=BB45_14 Depth=1
	s_waitcnt lgkmcnt(8)
	global_store_short v[20:21], v67, off offset:-1024
	s_or_b64 exec, exec, s[30:31]
	v_cmp_gt_u32_e32 vcc, s46, v32
	s_and_saveexec_b64 s[30:31], vcc
	s_cbranch_execz .LBB45_55
.LBB45_77:                              ;   in Loop: Header=BB45_14 Depth=1
	s_waitcnt lgkmcnt(7)
	global_store_short v[20:21], v66, off offset:-896
	s_or_b64 exec, exec, s[30:31]
	v_cmp_gt_u32_e32 vcc, s46, v33
	s_and_saveexec_b64 s[30:31], vcc
	s_cbranch_execz .LBB45_56
.LBB45_78:                              ;   in Loop: Header=BB45_14 Depth=1
	s_waitcnt lgkmcnt(6)
	global_store_short v[20:21], v65, off offset:-768
	s_or_b64 exec, exec, s[30:31]
	v_cmp_gt_u32_e32 vcc, s46, v34
	s_and_saveexec_b64 s[30:31], vcc
	s_cbranch_execz .LBB45_57
.LBB45_79:                              ;   in Loop: Header=BB45_14 Depth=1
	s_waitcnt lgkmcnt(5)
	global_store_short v[20:21], v64, off offset:-640
	s_or_b64 exec, exec, s[30:31]
	v_cmp_gt_u32_e32 vcc, s46, v35
	s_and_saveexec_b64 s[30:31], vcc
	s_cbranch_execz .LBB45_58
.LBB45_80:                              ;   in Loop: Header=BB45_14 Depth=1
	s_waitcnt lgkmcnt(4)
	global_store_short v[20:21], v63, off offset:-512
	s_or_b64 exec, exec, s[30:31]
	v_cmp_gt_u32_e32 vcc, s46, v36
	s_and_saveexec_b64 s[30:31], vcc
	s_cbranch_execz .LBB45_59
.LBB45_81:                              ;   in Loop: Header=BB45_14 Depth=1
	s_waitcnt lgkmcnt(3)
	global_store_short v[20:21], v62, off offset:-384
	s_or_b64 exec, exec, s[30:31]
	v_cmp_gt_u32_e32 vcc, s46, v37
	s_and_saveexec_b64 s[30:31], vcc
	s_cbranch_execz .LBB45_60
.LBB45_82:                              ;   in Loop: Header=BB45_14 Depth=1
	s_waitcnt lgkmcnt(2)
	global_store_short v[20:21], v61, off offset:-256
	s_or_b64 exec, exec, s[30:31]
	v_cmp_gt_u32_e32 vcc, s46, v38
	s_and_saveexec_b64 s[30:31], vcc
	s_cbranch_execnz .LBB45_61
	s_branch .LBB45_62
.LBB45_83:                              ;   in Loop: Header=BB45_14 Depth=1
	s_waitcnt lgkmcnt(0)
	global_load_ushort v0, v[20:21], off
	v_mov_b32_e32 v2, v1
	v_mov_b32_e32 v3, v1
	v_mov_b32_e32 v4, v1
	v_mov_b32_e32 v5, v1
	v_mov_b32_e32 v6, v1
	v_mov_b32_e32 v7, v1
	s_waitcnt vmcnt(0)
	v_and_b32_e32 v0, 0xffff, v0
	v_mov_b64_e32 v[8:9], v[6:7]
	v_mov_b64_e32 v[6:7], v[4:5]
	;; [unrolled: 1-line block ×4, first 2 shown]
	s_or_b64 exec, exec, s[38:39]
	v_cmp_gt_u32_e32 vcc, s46, v25
	s_and_saveexec_b64 s[30:31], vcc
	s_cbranch_execz .LBB45_17
.LBB45_84:                              ;   in Loop: Header=BB45_14 Depth=1
	s_waitcnt lgkmcnt(0)
	global_load_ushort v0, v[20:21], off offset:128
	s_waitcnt vmcnt(0)
	v_perm_b32 v2, v0, v2, s44
	s_or_b64 exec, exec, s[30:31]
	v_cmp_gt_u32_e32 vcc, s46, v26
	s_and_saveexec_b64 s[30:31], vcc
	s_cbranch_execz .LBB45_18
.LBB45_85:                              ;   in Loop: Header=BB45_14 Depth=1
	s_waitcnt lgkmcnt(0)
	global_load_ushort v0, v[20:21], off offset:256
	s_waitcnt vmcnt(0)
	v_bfi_b32 v3, s45, v0, v3
	s_or_b64 exec, exec, s[30:31]
	v_cmp_gt_u32_e32 vcc, s46, v27
	s_and_saveexec_b64 s[30:31], vcc
	s_cbranch_execz .LBB45_19
.LBB45_86:                              ;   in Loop: Header=BB45_14 Depth=1
	s_waitcnt lgkmcnt(0)
	global_load_ushort v0, v[20:21], off offset:384
	s_waitcnt vmcnt(0)
	v_perm_b32 v3, v0, v3, s44
	s_or_b64 exec, exec, s[30:31]
	v_cmp_gt_u32_e32 vcc, s46, v28
	s_and_saveexec_b64 s[30:31], vcc
	s_cbranch_execz .LBB45_20
.LBB45_87:                              ;   in Loop: Header=BB45_14 Depth=1
	s_waitcnt lgkmcnt(0)
	global_load_ushort v0, v[20:21], off offset:512
	s_waitcnt vmcnt(0)
	v_bfi_b32 v4, s45, v0, v4
	s_or_b64 exec, exec, s[30:31]
	v_cmp_gt_u32_e32 vcc, s46, v29
	s_and_saveexec_b64 s[30:31], vcc
	s_cbranch_execz .LBB45_21
.LBB45_88:                              ;   in Loop: Header=BB45_14 Depth=1
	s_waitcnt lgkmcnt(0)
	global_load_ushort v0, v[20:21], off offset:640
	s_waitcnt vmcnt(0)
	v_perm_b32 v4, v0, v4, s44
	s_or_b64 exec, exec, s[30:31]
	v_cmp_gt_u32_e32 vcc, s46, v30
	s_and_saveexec_b64 s[30:31], vcc
	s_cbranch_execz .LBB45_22
.LBB45_89:                              ;   in Loop: Header=BB45_14 Depth=1
	s_waitcnt lgkmcnt(0)
	global_load_ushort v0, v[20:21], off offset:768
	s_waitcnt vmcnt(0)
	v_bfi_b32 v5, s45, v0, v5
	s_or_b64 exec, exec, s[30:31]
	v_cmp_gt_u32_e32 vcc, s46, v31
	s_and_saveexec_b64 s[30:31], vcc
	s_cbranch_execz .LBB45_23
.LBB45_90:                              ;   in Loop: Header=BB45_14 Depth=1
	s_waitcnt lgkmcnt(0)
	global_load_ushort v0, v[20:21], off offset:896
	s_waitcnt vmcnt(0)
	v_perm_b32 v5, v0, v5, s44
	s_or_b64 exec, exec, s[30:31]
	v_cmp_gt_u32_e32 vcc, s46, v32
	s_and_saveexec_b64 s[30:31], vcc
	s_cbranch_execz .LBB45_24
.LBB45_91:                              ;   in Loop: Header=BB45_14 Depth=1
	s_waitcnt lgkmcnt(0)
	global_load_ushort v0, v[20:21], off offset:1024
	s_waitcnt vmcnt(0)
	v_bfi_b32 v6, s45, v0, v6
	s_or_b64 exec, exec, s[30:31]
	v_cmp_gt_u32_e32 vcc, s46, v33
	s_and_saveexec_b64 s[30:31], vcc
	s_cbranch_execz .LBB45_25
.LBB45_92:                              ;   in Loop: Header=BB45_14 Depth=1
	s_waitcnt lgkmcnt(0)
	global_load_ushort v0, v[20:21], off offset:1152
	s_waitcnt vmcnt(0)
	v_perm_b32 v6, v0, v6, s44
	s_or_b64 exec, exec, s[30:31]
	v_cmp_gt_u32_e32 vcc, s46, v34
	s_and_saveexec_b64 s[30:31], vcc
	s_cbranch_execz .LBB45_26
.LBB45_93:                              ;   in Loop: Header=BB45_14 Depth=1
	s_waitcnt lgkmcnt(0)
	global_load_ushort v0, v[20:21], off offset:1280
	s_waitcnt vmcnt(0)
	v_bfi_b32 v7, s45, v0, v7
	s_or_b64 exec, exec, s[30:31]
	v_cmp_gt_u32_e32 vcc, s46, v35
	s_and_saveexec_b64 s[30:31], vcc
	s_cbranch_execz .LBB45_27
.LBB45_94:                              ;   in Loop: Header=BB45_14 Depth=1
	s_waitcnt lgkmcnt(0)
	global_load_ushort v0, v[20:21], off offset:1408
	s_waitcnt vmcnt(0)
	v_perm_b32 v7, v0, v7, s44
	s_or_b64 exec, exec, s[30:31]
	v_cmp_gt_u32_e32 vcc, s46, v36
	s_and_saveexec_b64 s[30:31], vcc
	s_cbranch_execz .LBB45_28
.LBB45_95:                              ;   in Loop: Header=BB45_14 Depth=1
	s_waitcnt lgkmcnt(0)
	global_load_ushort v0, v[20:21], off offset:1536
	s_waitcnt vmcnt(0)
	v_bfi_b32 v8, s45, v0, v8
	s_or_b64 exec, exec, s[30:31]
	v_cmp_gt_u32_e32 vcc, s46, v37
	s_and_saveexec_b64 s[30:31], vcc
	s_cbranch_execz .LBB45_29
.LBB45_96:                              ;   in Loop: Header=BB45_14 Depth=1
	s_waitcnt lgkmcnt(0)
	global_load_ushort v0, v[20:21], off offset:1664
	s_waitcnt vmcnt(0)
	v_perm_b32 v8, v0, v8, s44
	s_or_b64 exec, exec, s[30:31]
	v_cmp_gt_u32_e32 vcc, s46, v38
	s_and_saveexec_b64 s[30:31], vcc
	s_cbranch_execz .LBB45_30
.LBB45_97:                              ;   in Loop: Header=BB45_14 Depth=1
	s_waitcnt lgkmcnt(0)
	global_load_ushort v0, v[20:21], off offset:1792
	s_waitcnt vmcnt(0)
	v_bfi_b32 v9, s45, v0, v9
	s_or_b64 exec, exec, s[30:31]
	v_cmp_gt_u32_e32 vcc, s46, v39
	s_and_saveexec_b64 s[30:31], vcc
	s_cbranch_execnz .LBB45_31
	s_branch .LBB45_32
.LBB45_98:
	s_endpgm
	.section	.rodata,"a",@progbits
	.p2align	6, 0x0
	.amdhsa_kernel _ZN2at4cuda3cub17final_scan_kernelILi512ELi16EsEEvPKT1_PS3_S6_li
		.amdhsa_group_segment_fixed_size 16896
		.amdhsa_private_segment_fixed_size 0
		.amdhsa_kernarg_size 296
		.amdhsa_user_sgpr_count 2
		.amdhsa_user_sgpr_dispatch_ptr 0
		.amdhsa_user_sgpr_queue_ptr 0
		.amdhsa_user_sgpr_kernarg_segment_ptr 1
		.amdhsa_user_sgpr_dispatch_id 0
		.amdhsa_user_sgpr_kernarg_preload_length 0
		.amdhsa_user_sgpr_kernarg_preload_offset 0
		.amdhsa_user_sgpr_private_segment_size 0
		.amdhsa_uses_dynamic_stack 0
		.amdhsa_enable_private_segment 0
		.amdhsa_system_sgpr_workgroup_id_x 1
		.amdhsa_system_sgpr_workgroup_id_y 0
		.amdhsa_system_sgpr_workgroup_id_z 0
		.amdhsa_system_sgpr_workgroup_info 0
		.amdhsa_system_vgpr_workitem_id 0
		.amdhsa_next_free_vgpr 75
		.amdhsa_next_free_sgpr 50
		.amdhsa_accum_offset 76
		.amdhsa_reserve_vcc 1
		.amdhsa_float_round_mode_32 0
		.amdhsa_float_round_mode_16_64 0
		.amdhsa_float_denorm_mode_32 3
		.amdhsa_float_denorm_mode_16_64 3
		.amdhsa_dx10_clamp 1
		.amdhsa_ieee_mode 1
		.amdhsa_fp16_overflow 0
		.amdhsa_tg_split 0
		.amdhsa_exception_fp_ieee_invalid_op 0
		.amdhsa_exception_fp_denorm_src 0
		.amdhsa_exception_fp_ieee_div_zero 0
		.amdhsa_exception_fp_ieee_overflow 0
		.amdhsa_exception_fp_ieee_underflow 0
		.amdhsa_exception_fp_ieee_inexact 0
		.amdhsa_exception_int_div_zero 0
	.end_amdhsa_kernel
	.section	.text._ZN2at4cuda3cub17final_scan_kernelILi512ELi16EsEEvPKT1_PS3_S6_li,"axG",@progbits,_ZN2at4cuda3cub17final_scan_kernelILi512ELi16EsEEvPKT1_PS3_S6_li,comdat
.Lfunc_end45:
	.size	_ZN2at4cuda3cub17final_scan_kernelILi512ELi16EsEEvPKT1_PS3_S6_li, .Lfunc_end45-_ZN2at4cuda3cub17final_scan_kernelILi512ELi16EsEEvPKT1_PS3_S6_li
                                        ; -- End function
	.section	.AMDGPU.csdata,"",@progbits
; Kernel info:
; codeLenInByte = 4768
; NumSgprs: 56
; NumVgprs: 75
; NumAgprs: 0
; TotalNumVgprs: 75
; ScratchSize: 0
; MemoryBound: 0
; FloatMode: 240
; IeeeMode: 1
; LDSByteSize: 16896 bytes/workgroup (compile time only)
; SGPRBlocks: 6
; VGPRBlocks: 9
; NumSGPRsForWavesPerEU: 56
; NumVGPRsForWavesPerEU: 75
; AccumOffset: 76
; Occupancy: 6
; WaveLimiterHint : 1
; COMPUTE_PGM_RSRC2:SCRATCH_EN: 0
; COMPUTE_PGM_RSRC2:USER_SGPR: 2
; COMPUTE_PGM_RSRC2:TRAP_HANDLER: 0
; COMPUTE_PGM_RSRC2:TGID_X_EN: 1
; COMPUTE_PGM_RSRC2:TGID_Y_EN: 0
; COMPUTE_PGM_RSRC2:TGID_Z_EN: 0
; COMPUTE_PGM_RSRC2:TIDIG_COMP_CNT: 0
; COMPUTE_PGM_RSRC3_GFX90A:ACCUM_OFFSET: 18
; COMPUTE_PGM_RSRC3_GFX90A:TG_SPLIT: 0
	.section	.text._ZN7rocprim17ROCPRIM_304000_NS6detail31init_lookback_scan_state_kernelINS1_19lookback_scan_stateIsLb1ELb1EEEEEvT_jjPNS5_10value_typeE,"axG",@progbits,_ZN7rocprim17ROCPRIM_304000_NS6detail31init_lookback_scan_state_kernelINS1_19lookback_scan_stateIsLb1ELb1EEEEEvT_jjPNS5_10value_typeE,comdat
	.protected	_ZN7rocprim17ROCPRIM_304000_NS6detail31init_lookback_scan_state_kernelINS1_19lookback_scan_stateIsLb1ELb1EEEEEvT_jjPNS5_10value_typeE ; -- Begin function _ZN7rocprim17ROCPRIM_304000_NS6detail31init_lookback_scan_state_kernelINS1_19lookback_scan_stateIsLb1ELb1EEEEEvT_jjPNS5_10value_typeE
	.globl	_ZN7rocprim17ROCPRIM_304000_NS6detail31init_lookback_scan_state_kernelINS1_19lookback_scan_stateIsLb1ELb1EEEEEvT_jjPNS5_10value_typeE
	.p2align	8
	.type	_ZN7rocprim17ROCPRIM_304000_NS6detail31init_lookback_scan_state_kernelINS1_19lookback_scan_stateIsLb1ELb1EEEEEvT_jjPNS5_10value_typeE,@function
_ZN7rocprim17ROCPRIM_304000_NS6detail31init_lookback_scan_state_kernelINS1_19lookback_scan_stateIsLb1ELb1EEEEEvT_jjPNS5_10value_typeE: ; @_ZN7rocprim17ROCPRIM_304000_NS6detail31init_lookback_scan_state_kernelINS1_19lookback_scan_stateIsLb1ELb1EEEEEvT_jjPNS5_10value_typeE
; %bb.0:
	s_load_dword s3, s[0:1], 0x24
	s_load_dwordx2 s[8:9], s[0:1], 0x10
	s_load_dwordx4 s[4:7], s[0:1], 0x0
	s_waitcnt lgkmcnt(0)
	s_and_b32 s0, s3, 0xffff
	s_mul_i32 s2, s2, s0
	s_cmp_eq_u64 s[8:9], 0
	v_add_u32_e32 v0, s2, v0
	s_cbranch_scc1 .LBB46_9
; %bb.1:
	s_cmp_lt_u32 s7, s6
	s_cselect_b32 s0, s7, 0
	s_mov_b32 s3, 0
	v_cmp_eq_u32_e32 vcc, s0, v0
	s_and_saveexec_b64 s[0:1], vcc
	s_cbranch_execz .LBB46_8
; %bb.2:
	s_add_i32 s2, s7, 64
	s_lshl_b64 s[2:3], s[2:3], 2
	s_add_u32 s2, s4, s2
	s_addc_u32 s3, s5, s3
	v_mov_b32_e32 v1, 0
	global_load_dword v2, v1, s[2:3] sc1
	s_waitcnt vmcnt(0)
	v_and_b32_e32 v3, 0xff0000, v2
	v_cmp_ne_u32_e32 vcc, 0, v3
	s_cbranch_vccnz .LBB46_7
; %bb.3:
	s_mov_b32 s7, 1
.LBB46_4:                               ; =>This Loop Header: Depth=1
                                        ;     Child Loop BB46_5 Depth 2
	s_max_u32 s10, s7, 1
.LBB46_5:                               ;   Parent Loop BB46_4 Depth=1
                                        ; =>  This Inner Loop Header: Depth=2
	s_add_i32 s10, s10, -1
	s_cmp_eq_u32 s10, 0
	s_sleep 1
	s_cbranch_scc0 .LBB46_5
; %bb.6:                                ;   in Loop: Header=BB46_4 Depth=1
	global_load_dword v2, v1, s[2:3] sc1
	s_cmp_lt_u32 s7, 32
	s_cselect_b64 s[10:11], -1, 0
	s_cmp_lg_u64 s[10:11], 0
	s_addc_u32 s7, s7, 0
	s_waitcnt vmcnt(0)
	v_and_b32_e32 v3, 0xff0000, v2
	v_cmp_ne_u32_e32 vcc, 0, v3
	s_cbranch_vccz .LBB46_4
.LBB46_7:
	v_mov_b32_e32 v1, 0
	global_store_short v1, v2, s[8:9]
.LBB46_8:
	s_or_b64 exec, exec, s[0:1]
.LBB46_9:
	v_cmp_gt_u32_e32 vcc, s6, v0
	s_and_saveexec_b64 s[0:1], vcc
	s_cbranch_execnz .LBB46_12
; %bb.10:
	s_or_b64 exec, exec, s[0:1]
	v_cmp_gt_u32_e32 vcc, 64, v0
	s_and_saveexec_b64 s[0:1], vcc
	s_cbranch_execnz .LBB46_13
.LBB46_11:
	s_endpgm
.LBB46_12:
	v_add_u32_e32 v2, 64, v0
	v_mov_b32_e32 v3, 0
	v_lshl_add_u64 v[4:5], v[2:3], 2, s[4:5]
	global_store_dword v[4:5], v3, off
	s_or_b64 exec, exec, s[0:1]
	v_cmp_gt_u32_e32 vcc, 64, v0
	s_and_saveexec_b64 s[0:1], vcc
	s_cbranch_execz .LBB46_11
.LBB46_13:
	v_mov_b32_e32 v1, 0
	v_lshl_add_u64 v[0:1], v[0:1], 2, s[4:5]
	v_mov_b32_e32 v2, 0xff0000
	global_store_dword v[0:1], v2, off
	s_endpgm
	.section	.rodata,"a",@progbits
	.p2align	6, 0x0
	.amdhsa_kernel _ZN7rocprim17ROCPRIM_304000_NS6detail31init_lookback_scan_state_kernelINS1_19lookback_scan_stateIsLb1ELb1EEEEEvT_jjPNS5_10value_typeE
		.amdhsa_group_segment_fixed_size 0
		.amdhsa_private_segment_fixed_size 0
		.amdhsa_kernarg_size 280
		.amdhsa_user_sgpr_count 2
		.amdhsa_user_sgpr_dispatch_ptr 0
		.amdhsa_user_sgpr_queue_ptr 0
		.amdhsa_user_sgpr_kernarg_segment_ptr 1
		.amdhsa_user_sgpr_dispatch_id 0
		.amdhsa_user_sgpr_kernarg_preload_length 0
		.amdhsa_user_sgpr_kernarg_preload_offset 0
		.amdhsa_user_sgpr_private_segment_size 0
		.amdhsa_uses_dynamic_stack 0
		.amdhsa_enable_private_segment 0
		.amdhsa_system_sgpr_workgroup_id_x 1
		.amdhsa_system_sgpr_workgroup_id_y 0
		.amdhsa_system_sgpr_workgroup_id_z 0
		.amdhsa_system_sgpr_workgroup_info 0
		.amdhsa_system_vgpr_workitem_id 0
		.amdhsa_next_free_vgpr 6
		.amdhsa_next_free_sgpr 12
		.amdhsa_accum_offset 8
		.amdhsa_reserve_vcc 1
		.amdhsa_float_round_mode_32 0
		.amdhsa_float_round_mode_16_64 0
		.amdhsa_float_denorm_mode_32 3
		.amdhsa_float_denorm_mode_16_64 3
		.amdhsa_dx10_clamp 1
		.amdhsa_ieee_mode 1
		.amdhsa_fp16_overflow 0
		.amdhsa_tg_split 0
		.amdhsa_exception_fp_ieee_invalid_op 0
		.amdhsa_exception_fp_denorm_src 0
		.amdhsa_exception_fp_ieee_div_zero 0
		.amdhsa_exception_fp_ieee_overflow 0
		.amdhsa_exception_fp_ieee_underflow 0
		.amdhsa_exception_fp_ieee_inexact 0
		.amdhsa_exception_int_div_zero 0
	.end_amdhsa_kernel
	.section	.text._ZN7rocprim17ROCPRIM_304000_NS6detail31init_lookback_scan_state_kernelINS1_19lookback_scan_stateIsLb1ELb1EEEEEvT_jjPNS5_10value_typeE,"axG",@progbits,_ZN7rocprim17ROCPRIM_304000_NS6detail31init_lookback_scan_state_kernelINS1_19lookback_scan_stateIsLb1ELb1EEEEEvT_jjPNS5_10value_typeE,comdat
.Lfunc_end46:
	.size	_ZN7rocprim17ROCPRIM_304000_NS6detail31init_lookback_scan_state_kernelINS1_19lookback_scan_stateIsLb1ELb1EEEEEvT_jjPNS5_10value_typeE, .Lfunc_end46-_ZN7rocprim17ROCPRIM_304000_NS6detail31init_lookback_scan_state_kernelINS1_19lookback_scan_stateIsLb1ELb1EEEEEvT_jjPNS5_10value_typeE
                                        ; -- End function
	.section	.AMDGPU.csdata,"",@progbits
; Kernel info:
; codeLenInByte = 312
; NumSgprs: 18
; NumVgprs: 6
; NumAgprs: 0
; TotalNumVgprs: 6
; ScratchSize: 0
; MemoryBound: 0
; FloatMode: 240
; IeeeMode: 1
; LDSByteSize: 0 bytes/workgroup (compile time only)
; SGPRBlocks: 2
; VGPRBlocks: 0
; NumSGPRsForWavesPerEU: 18
; NumVGPRsForWavesPerEU: 6
; AccumOffset: 8
; Occupancy: 8
; WaveLimiterHint : 0
; COMPUTE_PGM_RSRC2:SCRATCH_EN: 0
; COMPUTE_PGM_RSRC2:USER_SGPR: 2
; COMPUTE_PGM_RSRC2:TRAP_HANDLER: 0
; COMPUTE_PGM_RSRC2:TGID_X_EN: 1
; COMPUTE_PGM_RSRC2:TGID_Y_EN: 0
; COMPUTE_PGM_RSRC2:TGID_Z_EN: 0
; COMPUTE_PGM_RSRC2:TIDIG_COMP_CNT: 0
; COMPUTE_PGM_RSRC3_GFX90A:ACCUM_OFFSET: 1
; COMPUTE_PGM_RSRC3_GFX90A:TG_SPLIT: 0
	.section	.text._ZN7rocprim17ROCPRIM_304000_NS6detail31init_lookback_scan_state_kernelINS1_19lookback_scan_stateIsLb0ELb1EEEEEvT_jjPNS5_10value_typeE,"axG",@progbits,_ZN7rocprim17ROCPRIM_304000_NS6detail31init_lookback_scan_state_kernelINS1_19lookback_scan_stateIsLb0ELb1EEEEEvT_jjPNS5_10value_typeE,comdat
	.protected	_ZN7rocprim17ROCPRIM_304000_NS6detail31init_lookback_scan_state_kernelINS1_19lookback_scan_stateIsLb0ELb1EEEEEvT_jjPNS5_10value_typeE ; -- Begin function _ZN7rocprim17ROCPRIM_304000_NS6detail31init_lookback_scan_state_kernelINS1_19lookback_scan_stateIsLb0ELb1EEEEEvT_jjPNS5_10value_typeE
	.globl	_ZN7rocprim17ROCPRIM_304000_NS6detail31init_lookback_scan_state_kernelINS1_19lookback_scan_stateIsLb0ELb1EEEEEvT_jjPNS5_10value_typeE
	.p2align	8
	.type	_ZN7rocprim17ROCPRIM_304000_NS6detail31init_lookback_scan_state_kernelINS1_19lookback_scan_stateIsLb0ELb1EEEEEvT_jjPNS5_10value_typeE,@function
_ZN7rocprim17ROCPRIM_304000_NS6detail31init_lookback_scan_state_kernelINS1_19lookback_scan_stateIsLb0ELb1EEEEEvT_jjPNS5_10value_typeE: ; @_ZN7rocprim17ROCPRIM_304000_NS6detail31init_lookback_scan_state_kernelINS1_19lookback_scan_stateIsLb0ELb1EEEEEvT_jjPNS5_10value_typeE
; %bb.0:
	s_load_dword s3, s[0:1], 0x24
	s_load_dwordx2 s[8:9], s[0:1], 0x10
	s_load_dwordx4 s[4:7], s[0:1], 0x0
	s_waitcnt lgkmcnt(0)
	s_and_b32 s0, s3, 0xffff
	s_mul_i32 s2, s2, s0
	s_cmp_eq_u64 s[8:9], 0
	v_add_u32_e32 v0, s2, v0
	s_cbranch_scc1 .LBB47_6
; %bb.1:
	s_cmp_lt_u32 s7, s6
	s_cselect_b32 s0, s7, 0
	s_mov_b32 s3, 0
	v_cmp_eq_u32_e32 vcc, s0, v0
	s_and_saveexec_b64 s[0:1], vcc
	s_cbranch_execz .LBB47_5
; %bb.2:
	s_add_i32 s2, s7, 64
	s_lshl_b64 s[2:3], s[2:3], 2
	s_add_u32 s2, s4, s2
	s_addc_u32 s3, s5, s3
	v_mov_b32_e32 v2, 0
	global_load_dword v1, v2, s[2:3] sc1
	s_waitcnt vmcnt(0)
	v_and_b32_e32 v3, 0xff0000, v1
	v_cmp_ne_u32_e32 vcc, 0, v3
	s_cbranch_vccnz .LBB47_4
.LBB47_3:                               ; =>This Inner Loop Header: Depth=1
	global_load_dword v1, v2, s[2:3] sc1
	s_waitcnt vmcnt(0)
	v_and_b32_e32 v3, 0xff0000, v1
	v_cmp_eq_u32_e32 vcc, 0, v3
	s_cbranch_vccnz .LBB47_3
.LBB47_4:
	v_mov_b32_e32 v2, 0
	global_store_short v2, v1, s[8:9]
.LBB47_5:
	s_or_b64 exec, exec, s[0:1]
.LBB47_6:
	v_cmp_gt_u32_e32 vcc, s6, v0
	s_and_saveexec_b64 s[0:1], vcc
	s_cbranch_execnz .LBB47_9
; %bb.7:
	s_or_b64 exec, exec, s[0:1]
	v_cmp_gt_u32_e32 vcc, 64, v0
	s_and_saveexec_b64 s[0:1], vcc
	s_cbranch_execnz .LBB47_10
.LBB47_8:
	s_endpgm
.LBB47_9:
	v_add_u32_e32 v2, 64, v0
	v_mov_b32_e32 v3, 0
	v_lshl_add_u64 v[4:5], v[2:3], 2, s[4:5]
	global_store_dword v[4:5], v3, off
	s_or_b64 exec, exec, s[0:1]
	v_cmp_gt_u32_e32 vcc, 64, v0
	s_and_saveexec_b64 s[0:1], vcc
	s_cbranch_execz .LBB47_8
.LBB47_10:
	v_mov_b32_e32 v1, 0
	v_lshl_add_u64 v[0:1], v[0:1], 2, s[4:5]
	v_mov_b32_e32 v2, 0xff0000
	global_store_dword v[0:1], v2, off
	s_endpgm
	.section	.rodata,"a",@progbits
	.p2align	6, 0x0
	.amdhsa_kernel _ZN7rocprim17ROCPRIM_304000_NS6detail31init_lookback_scan_state_kernelINS1_19lookback_scan_stateIsLb0ELb1EEEEEvT_jjPNS5_10value_typeE
		.amdhsa_group_segment_fixed_size 0
		.amdhsa_private_segment_fixed_size 0
		.amdhsa_kernarg_size 280
		.amdhsa_user_sgpr_count 2
		.amdhsa_user_sgpr_dispatch_ptr 0
		.amdhsa_user_sgpr_queue_ptr 0
		.amdhsa_user_sgpr_kernarg_segment_ptr 1
		.amdhsa_user_sgpr_dispatch_id 0
		.amdhsa_user_sgpr_kernarg_preload_length 0
		.amdhsa_user_sgpr_kernarg_preload_offset 0
		.amdhsa_user_sgpr_private_segment_size 0
		.amdhsa_uses_dynamic_stack 0
		.amdhsa_enable_private_segment 0
		.amdhsa_system_sgpr_workgroup_id_x 1
		.amdhsa_system_sgpr_workgroup_id_y 0
		.amdhsa_system_sgpr_workgroup_id_z 0
		.amdhsa_system_sgpr_workgroup_info 0
		.amdhsa_system_vgpr_workitem_id 0
		.amdhsa_next_free_vgpr 6
		.amdhsa_next_free_sgpr 10
		.amdhsa_accum_offset 8
		.amdhsa_reserve_vcc 1
		.amdhsa_float_round_mode_32 0
		.amdhsa_float_round_mode_16_64 0
		.amdhsa_float_denorm_mode_32 3
		.amdhsa_float_denorm_mode_16_64 3
		.amdhsa_dx10_clamp 1
		.amdhsa_ieee_mode 1
		.amdhsa_fp16_overflow 0
		.amdhsa_tg_split 0
		.amdhsa_exception_fp_ieee_invalid_op 0
		.amdhsa_exception_fp_denorm_src 0
		.amdhsa_exception_fp_ieee_div_zero 0
		.amdhsa_exception_fp_ieee_overflow 0
		.amdhsa_exception_fp_ieee_underflow 0
		.amdhsa_exception_fp_ieee_inexact 0
		.amdhsa_exception_int_div_zero 0
	.end_amdhsa_kernel
	.section	.text._ZN7rocprim17ROCPRIM_304000_NS6detail31init_lookback_scan_state_kernelINS1_19lookback_scan_stateIsLb0ELb1EEEEEvT_jjPNS5_10value_typeE,"axG",@progbits,_ZN7rocprim17ROCPRIM_304000_NS6detail31init_lookback_scan_state_kernelINS1_19lookback_scan_stateIsLb0ELb1EEEEEvT_jjPNS5_10value_typeE,comdat
.Lfunc_end47:
	.size	_ZN7rocprim17ROCPRIM_304000_NS6detail31init_lookback_scan_state_kernelINS1_19lookback_scan_stateIsLb0ELb1EEEEEvT_jjPNS5_10value_typeE, .Lfunc_end47-_ZN7rocprim17ROCPRIM_304000_NS6detail31init_lookback_scan_state_kernelINS1_19lookback_scan_stateIsLb0ELb1EEEEEvT_jjPNS5_10value_typeE
                                        ; -- End function
	.section	.AMDGPU.csdata,"",@progbits
; Kernel info:
; codeLenInByte = 272
; NumSgprs: 16
; NumVgprs: 6
; NumAgprs: 0
; TotalNumVgprs: 6
; ScratchSize: 0
; MemoryBound: 0
; FloatMode: 240
; IeeeMode: 1
; LDSByteSize: 0 bytes/workgroup (compile time only)
; SGPRBlocks: 1
; VGPRBlocks: 0
; NumSGPRsForWavesPerEU: 16
; NumVGPRsForWavesPerEU: 6
; AccumOffset: 8
; Occupancy: 8
; WaveLimiterHint : 0
; COMPUTE_PGM_RSRC2:SCRATCH_EN: 0
; COMPUTE_PGM_RSRC2:USER_SGPR: 2
; COMPUTE_PGM_RSRC2:TRAP_HANDLER: 0
; COMPUTE_PGM_RSRC2:TGID_X_EN: 1
; COMPUTE_PGM_RSRC2:TGID_Y_EN: 0
; COMPUTE_PGM_RSRC2:TGID_Z_EN: 0
; COMPUTE_PGM_RSRC2:TIDIG_COMP_CNT: 0
; COMPUTE_PGM_RSRC3_GFX90A:ACCUM_OFFSET: 1
; COMPUTE_PGM_RSRC3_GFX90A:TG_SPLIT: 0
	.section	.text._ZN7rocprim17ROCPRIM_304000_NS6detail20lookback_scan_kernelILNS1_25lookback_scan_determinismE0ELb0ENS1_19wrapped_scan_configINS0_14default_configEsEEPKsPsSt4plusIsEssNS1_19lookback_scan_stateIsLb1ELb1EEEEEvT2_T3_mT5_T4_T7_jPT6_SK_bb,"axG",@progbits,_ZN7rocprim17ROCPRIM_304000_NS6detail20lookback_scan_kernelILNS1_25lookback_scan_determinismE0ELb0ENS1_19wrapped_scan_configINS0_14default_configEsEEPKsPsSt4plusIsEssNS1_19lookback_scan_stateIsLb1ELb1EEEEEvT2_T3_mT5_T4_T7_jPT6_SK_bb,comdat
	.protected	_ZN7rocprim17ROCPRIM_304000_NS6detail20lookback_scan_kernelILNS1_25lookback_scan_determinismE0ELb0ENS1_19wrapped_scan_configINS0_14default_configEsEEPKsPsSt4plusIsEssNS1_19lookback_scan_stateIsLb1ELb1EEEEEvT2_T3_mT5_T4_T7_jPT6_SK_bb ; -- Begin function _ZN7rocprim17ROCPRIM_304000_NS6detail20lookback_scan_kernelILNS1_25lookback_scan_determinismE0ELb0ENS1_19wrapped_scan_configINS0_14default_configEsEEPKsPsSt4plusIsEssNS1_19lookback_scan_stateIsLb1ELb1EEEEEvT2_T3_mT5_T4_T7_jPT6_SK_bb
	.globl	_ZN7rocprim17ROCPRIM_304000_NS6detail20lookback_scan_kernelILNS1_25lookback_scan_determinismE0ELb0ENS1_19wrapped_scan_configINS0_14default_configEsEEPKsPsSt4plusIsEssNS1_19lookback_scan_stateIsLb1ELb1EEEEEvT2_T3_mT5_T4_T7_jPT6_SK_bb
	.p2align	8
	.type	_ZN7rocprim17ROCPRIM_304000_NS6detail20lookback_scan_kernelILNS1_25lookback_scan_determinismE0ELb0ENS1_19wrapped_scan_configINS0_14default_configEsEEPKsPsSt4plusIsEssNS1_19lookback_scan_stateIsLb1ELb1EEEEEvT2_T3_mT5_T4_T7_jPT6_SK_bb,@function
_ZN7rocprim17ROCPRIM_304000_NS6detail20lookback_scan_kernelILNS1_25lookback_scan_determinismE0ELb0ENS1_19wrapped_scan_configINS0_14default_configEsEEPKsPsSt4plusIsEssNS1_19lookback_scan_stateIsLb1ELb1EEEEEvT2_T3_mT5_T4_T7_jPT6_SK_bb: ; @_ZN7rocprim17ROCPRIM_304000_NS6detail20lookback_scan_kernelILNS1_25lookback_scan_determinismE0ELb0ENS1_19wrapped_scan_configINS0_14default_configEsEEPKsPsSt4plusIsEssNS1_19lookback_scan_stateIsLb1ELb1EEEEEvT2_T3_mT5_T4_T7_jPT6_SK_bb
; %bb.0:
	s_endpgm
	.section	.rodata,"a",@progbits
	.p2align	6, 0x0
	.amdhsa_kernel _ZN7rocprim17ROCPRIM_304000_NS6detail20lookback_scan_kernelILNS1_25lookback_scan_determinismE0ELb0ENS1_19wrapped_scan_configINS0_14default_configEsEEPKsPsSt4plusIsEssNS1_19lookback_scan_stateIsLb1ELb1EEEEEvT2_T3_mT5_T4_T7_jPT6_SK_bb
		.amdhsa_group_segment_fixed_size 0
		.amdhsa_private_segment_fixed_size 0
		.amdhsa_kernarg_size 68
		.amdhsa_user_sgpr_count 2
		.amdhsa_user_sgpr_dispatch_ptr 0
		.amdhsa_user_sgpr_queue_ptr 0
		.amdhsa_user_sgpr_kernarg_segment_ptr 1
		.amdhsa_user_sgpr_dispatch_id 0
		.amdhsa_user_sgpr_kernarg_preload_length 0
		.amdhsa_user_sgpr_kernarg_preload_offset 0
		.amdhsa_user_sgpr_private_segment_size 0
		.amdhsa_uses_dynamic_stack 0
		.amdhsa_enable_private_segment 0
		.amdhsa_system_sgpr_workgroup_id_x 1
		.amdhsa_system_sgpr_workgroup_id_y 0
		.amdhsa_system_sgpr_workgroup_id_z 0
		.amdhsa_system_sgpr_workgroup_info 0
		.amdhsa_system_vgpr_workitem_id 0
		.amdhsa_next_free_vgpr 1
		.amdhsa_next_free_sgpr 0
		.amdhsa_accum_offset 4
		.amdhsa_reserve_vcc 0
		.amdhsa_float_round_mode_32 0
		.amdhsa_float_round_mode_16_64 0
		.amdhsa_float_denorm_mode_32 3
		.amdhsa_float_denorm_mode_16_64 3
		.amdhsa_dx10_clamp 1
		.amdhsa_ieee_mode 1
		.amdhsa_fp16_overflow 0
		.amdhsa_tg_split 0
		.amdhsa_exception_fp_ieee_invalid_op 0
		.amdhsa_exception_fp_denorm_src 0
		.amdhsa_exception_fp_ieee_div_zero 0
		.amdhsa_exception_fp_ieee_overflow 0
		.amdhsa_exception_fp_ieee_underflow 0
		.amdhsa_exception_fp_ieee_inexact 0
		.amdhsa_exception_int_div_zero 0
	.end_amdhsa_kernel
	.section	.text._ZN7rocprim17ROCPRIM_304000_NS6detail20lookback_scan_kernelILNS1_25lookback_scan_determinismE0ELb0ENS1_19wrapped_scan_configINS0_14default_configEsEEPKsPsSt4plusIsEssNS1_19lookback_scan_stateIsLb1ELb1EEEEEvT2_T3_mT5_T4_T7_jPT6_SK_bb,"axG",@progbits,_ZN7rocprim17ROCPRIM_304000_NS6detail20lookback_scan_kernelILNS1_25lookback_scan_determinismE0ELb0ENS1_19wrapped_scan_configINS0_14default_configEsEEPKsPsSt4plusIsEssNS1_19lookback_scan_stateIsLb1ELb1EEEEEvT2_T3_mT5_T4_T7_jPT6_SK_bb,comdat
.Lfunc_end48:
	.size	_ZN7rocprim17ROCPRIM_304000_NS6detail20lookback_scan_kernelILNS1_25lookback_scan_determinismE0ELb0ENS1_19wrapped_scan_configINS0_14default_configEsEEPKsPsSt4plusIsEssNS1_19lookback_scan_stateIsLb1ELb1EEEEEvT2_T3_mT5_T4_T7_jPT6_SK_bb, .Lfunc_end48-_ZN7rocprim17ROCPRIM_304000_NS6detail20lookback_scan_kernelILNS1_25lookback_scan_determinismE0ELb0ENS1_19wrapped_scan_configINS0_14default_configEsEEPKsPsSt4plusIsEssNS1_19lookback_scan_stateIsLb1ELb1EEEEEvT2_T3_mT5_T4_T7_jPT6_SK_bb
                                        ; -- End function
	.section	.AMDGPU.csdata,"",@progbits
; Kernel info:
; codeLenInByte = 4
; NumSgprs: 6
; NumVgprs: 0
; NumAgprs: 0
; TotalNumVgprs: 0
; ScratchSize: 0
; MemoryBound: 0
; FloatMode: 240
; IeeeMode: 1
; LDSByteSize: 0 bytes/workgroup (compile time only)
; SGPRBlocks: 0
; VGPRBlocks: 0
; NumSGPRsForWavesPerEU: 6
; NumVGPRsForWavesPerEU: 1
; AccumOffset: 4
; Occupancy: 8
; WaveLimiterHint : 0
; COMPUTE_PGM_RSRC2:SCRATCH_EN: 0
; COMPUTE_PGM_RSRC2:USER_SGPR: 2
; COMPUTE_PGM_RSRC2:TRAP_HANDLER: 0
; COMPUTE_PGM_RSRC2:TGID_X_EN: 1
; COMPUTE_PGM_RSRC2:TGID_Y_EN: 0
; COMPUTE_PGM_RSRC2:TGID_Z_EN: 0
; COMPUTE_PGM_RSRC2:TIDIG_COMP_CNT: 0
; COMPUTE_PGM_RSRC3_GFX90A:ACCUM_OFFSET: 0
; COMPUTE_PGM_RSRC3_GFX90A:TG_SPLIT: 0
	.section	.text._ZN7rocprim17ROCPRIM_304000_NS6detail20lookback_scan_kernelILNS1_25lookback_scan_determinismE0ELb0ENS1_19wrapped_scan_configINS0_14default_configEsEEPKsPsSt4plusIsEssNS1_19lookback_scan_stateIsLb0ELb1EEEEEvT2_T3_mT5_T4_T7_jPT6_SK_bb,"axG",@progbits,_ZN7rocprim17ROCPRIM_304000_NS6detail20lookback_scan_kernelILNS1_25lookback_scan_determinismE0ELb0ENS1_19wrapped_scan_configINS0_14default_configEsEEPKsPsSt4plusIsEssNS1_19lookback_scan_stateIsLb0ELb1EEEEEvT2_T3_mT5_T4_T7_jPT6_SK_bb,comdat
	.protected	_ZN7rocprim17ROCPRIM_304000_NS6detail20lookback_scan_kernelILNS1_25lookback_scan_determinismE0ELb0ENS1_19wrapped_scan_configINS0_14default_configEsEEPKsPsSt4plusIsEssNS1_19lookback_scan_stateIsLb0ELb1EEEEEvT2_T3_mT5_T4_T7_jPT6_SK_bb ; -- Begin function _ZN7rocprim17ROCPRIM_304000_NS6detail20lookback_scan_kernelILNS1_25lookback_scan_determinismE0ELb0ENS1_19wrapped_scan_configINS0_14default_configEsEEPKsPsSt4plusIsEssNS1_19lookback_scan_stateIsLb0ELb1EEEEEvT2_T3_mT5_T4_T7_jPT6_SK_bb
	.globl	_ZN7rocprim17ROCPRIM_304000_NS6detail20lookback_scan_kernelILNS1_25lookback_scan_determinismE0ELb0ENS1_19wrapped_scan_configINS0_14default_configEsEEPKsPsSt4plusIsEssNS1_19lookback_scan_stateIsLb0ELb1EEEEEvT2_T3_mT5_T4_T7_jPT6_SK_bb
	.p2align	8
	.type	_ZN7rocprim17ROCPRIM_304000_NS6detail20lookback_scan_kernelILNS1_25lookback_scan_determinismE0ELb0ENS1_19wrapped_scan_configINS0_14default_configEsEEPKsPsSt4plusIsEssNS1_19lookback_scan_stateIsLb0ELb1EEEEEvT2_T3_mT5_T4_T7_jPT6_SK_bb,@function
_ZN7rocprim17ROCPRIM_304000_NS6detail20lookback_scan_kernelILNS1_25lookback_scan_determinismE0ELb0ENS1_19wrapped_scan_configINS0_14default_configEsEEPKsPsSt4plusIsEssNS1_19lookback_scan_stateIsLb0ELb1EEEEEvT2_T3_mT5_T4_T7_jPT6_SK_bb: ; @_ZN7rocprim17ROCPRIM_304000_NS6detail20lookback_scan_kernelILNS1_25lookback_scan_determinismE0ELb0ENS1_19wrapped_scan_configINS0_14default_configEsEEPKsPsSt4plusIsEssNS1_19lookback_scan_stateIsLb0ELb1EEEEEvT2_T3_mT5_T4_T7_jPT6_SK_bb
; %bb.0:
	s_load_dword s3, s[0:1], 0x28
	s_load_dwordx4 s[12:15], s[0:1], 0x0
	s_load_dwordx2 s[4:5], s[0:1], 0x10
	s_mul_i32 s6, s2, 0x1800
	s_mov_b32 s7, 0
	s_waitcnt lgkmcnt(0)
	s_add_i32 s3, s3, -1
	s_mul_i32 s8, s3, 0x1800
	s_sub_u32 s22, s4, s8
	s_subb_u32 s23, s5, 0
	s_cmp_lg_u32 s2, s3
	s_cselect_b64 s[16:17], -1, 0
	s_lshl_b64 s[18:19], s[6:7], 1
	s_add_u32 s6, s12, s18
	s_addc_u32 s7, s13, s19
	s_mov_b64 s[4:5], -1
	s_and_b64 vcc, exec, s[16:17]
	v_lshlrev_b32_e32 v14, 1, v0
	s_cbranch_vccz .LBB49_2
; %bb.1:
	v_mov_b32_e32 v15, 0
	v_lshl_add_u64 v[2:3], s[6:7], 0, v[14:15]
	v_add_co_u32_e32 v4, vcc, 0x1000, v2
	global_load_ushort v1, v14, s[6:7]
	global_load_ushort v6, v14, s[6:7] offset:512
	global_load_ushort v7, v14, s[6:7] offset:1024
	;; [unrolled: 1-line block ×7, first 2 shown]
	v_addc_co_u32_e32 v5, vcc, 0, v3, vcc
	v_add_co_u32_e32 v2, vcc, 0x2000, v2
	global_load_ushort v13, v[4:5], off
	global_load_ushort v15, v[4:5], off offset:512
	global_load_ushort v16, v[4:5], off offset:1024
	;; [unrolled: 1-line block ×7, first 2 shown]
	v_addc_co_u32_e32 v3, vcc, 0, v3, vcc
	global_load_ushort v4, v[2:3], off
	global_load_ushort v5, v[2:3], off offset:512
	global_load_ushort v22, v[2:3], off offset:1024
	;; [unrolled: 1-line block ×7, first 2 shown]
	s_mov_b64 s[4:5], 0
	s_waitcnt vmcnt(23)
	ds_write_b16 v14, v1
	s_waitcnt vmcnt(22)
	ds_write_b16 v14, v6 offset:512
	s_waitcnt vmcnt(21)
	ds_write_b16 v14, v7 offset:1024
	;; [unrolled: 2-line block ×23, first 2 shown]
	s_waitcnt lgkmcnt(0)
	s_barrier
.LBB49_2:
	s_andn2_b64 vcc, exec, s[4:5]
	v_cmp_gt_u32_e64 s[4:5], s22, v0
	s_cbranch_vccnz .LBB49_52
; %bb.3:
	v_mov_b32_e32 v15, 0
	global_load_ushort v1, v15, s[6:7]
	v_lshl_add_u64 v[2:3], s[6:7], 0, v[14:15]
	s_waitcnt vmcnt(0)
	v_mov_b32_e32 v4, v1
	s_and_saveexec_b64 s[6:7], s[4:5]
	s_cbranch_execz .LBB49_5
; %bb.4:
	global_load_ushort v4, v[2:3], off
.LBB49_5:
	s_or_b64 exec, exec, s[6:7]
	v_or_b32_e32 v5, 0x100, v0
	v_cmp_gt_u32_e32 vcc, s22, v5
	v_mov_b32_e32 v5, v1
	s_and_saveexec_b64 s[4:5], vcc
	s_cbranch_execz .LBB49_7
; %bb.6:
	global_load_ushort v5, v[2:3], off offset:512
.LBB49_7:
	s_or_b64 exec, exec, s[4:5]
	v_or_b32_e32 v6, 0x200, v0
	v_cmp_gt_u32_e32 vcc, s22, v6
	v_mov_b32_e32 v6, v1
	s_and_saveexec_b64 s[4:5], vcc
	s_cbranch_execz .LBB49_9
; %bb.8:
	global_load_ushort v6, v[2:3], off offset:1024
.LBB49_9:
	;; [unrolled: 9-line block ×7, first 2 shown]
	s_or_b64 exec, exec, s[4:5]
	v_or_b32_e32 v12, 0x800, v0
	v_cmp_gt_u32_e32 vcc, s22, v12
	v_mov_b32_e32 v12, v1
	s_and_saveexec_b64 s[4:5], vcc
	s_cbranch_execz .LBB49_21
; %bb.20:
	v_add_co_u32_e32 v12, vcc, 0x1000, v2
	s_nop 1
	v_addc_co_u32_e32 v13, vcc, 0, v3, vcc
	global_load_ushort v12, v[12:13], off
.LBB49_21:
	s_or_b64 exec, exec, s[4:5]
	v_or_b32_e32 v13, 0x900, v0
	v_cmp_gt_u32_e32 vcc, s22, v13
	v_mov_b32_e32 v13, v1
	s_and_saveexec_b64 s[4:5], vcc
	s_cbranch_execz .LBB49_23
; %bb.22:
	v_add_co_u32_e32 v16, vcc, 0x1000, v2
	s_nop 1
	v_addc_co_u32_e32 v17, vcc, 0, v3, vcc
	global_load_ushort v13, v[16:17], off offset:512
.LBB49_23:
	s_or_b64 exec, exec, s[4:5]
	v_or_b32_e32 v15, 0xa00, v0
	v_cmp_gt_u32_e32 vcc, s22, v15
	v_mov_b32_e32 v15, v1
	s_and_saveexec_b64 s[4:5], vcc
	s_cbranch_execz .LBB49_25
; %bb.24:
	v_add_co_u32_e32 v16, vcc, 0x1000, v2
	s_nop 1
	v_addc_co_u32_e32 v17, vcc, 0, v3, vcc
	global_load_ushort v15, v[16:17], off offset:1024
.LBB49_25:
	;; [unrolled: 12-line block ×7, first 2 shown]
	s_or_b64 exec, exec, s[4:5]
	v_or_b32_e32 v21, 0x1000, v0
	v_cmp_gt_u32_e32 vcc, s22, v21
	v_mov_b32_e32 v21, v1
	s_and_saveexec_b64 s[4:5], vcc
	s_cbranch_execz .LBB49_37
; %bb.36:
	v_add_co_u32_e32 v22, vcc, 0x2000, v2
	s_nop 1
	v_addc_co_u32_e32 v23, vcc, 0, v3, vcc
	global_load_ushort v21, v[22:23], off
.LBB49_37:
	s_or_b64 exec, exec, s[4:5]
	v_or_b32_e32 v22, 0x1100, v0
	v_cmp_gt_u32_e32 vcc, s22, v22
	v_mov_b32_e32 v22, v1
	s_and_saveexec_b64 s[4:5], vcc
	s_cbranch_execz .LBB49_39
; %bb.38:
	v_add_co_u32_e32 v22, vcc, 0x2000, v2
	s_nop 1
	v_addc_co_u32_e32 v23, vcc, 0, v3, vcc
	global_load_ushort v22, v[22:23], off offset:512
.LBB49_39:
	s_or_b64 exec, exec, s[4:5]
	v_or_b32_e32 v23, 0x1200, v0
	v_cmp_gt_u32_e32 vcc, s22, v23
	v_mov_b32_e32 v23, v1
	s_and_saveexec_b64 s[4:5], vcc
	s_cbranch_execz .LBB49_41
; %bb.40:
	v_add_co_u32_e32 v24, vcc, 0x2000, v2
	s_nop 1
	v_addc_co_u32_e32 v25, vcc, 0, v3, vcc
	global_load_ushort v23, v[24:25], off offset:1024
.LBB49_41:
	s_or_b64 exec, exec, s[4:5]
	v_or_b32_e32 v24, 0x1300, v0
	v_cmp_gt_u32_e32 vcc, s22, v24
	v_mov_b32_e32 v24, v1
	s_and_saveexec_b64 s[4:5], vcc
	s_cbranch_execz .LBB49_43
; %bb.42:
	v_add_co_u32_e32 v24, vcc, 0x2000, v2
	s_nop 1
	v_addc_co_u32_e32 v25, vcc, 0, v3, vcc
	global_load_ushort v24, v[24:25], off offset:1536
.LBB49_43:
	s_or_b64 exec, exec, s[4:5]
	v_or_b32_e32 v25, 0x1400, v0
	v_cmp_gt_u32_e32 vcc, s22, v25
	v_mov_b32_e32 v25, v1
	s_and_saveexec_b64 s[4:5], vcc
	s_cbranch_execz .LBB49_45
; %bb.44:
	v_add_co_u32_e32 v26, vcc, 0x2000, v2
	s_nop 1
	v_addc_co_u32_e32 v27, vcc, 0, v3, vcc
	global_load_ushort v25, v[26:27], off offset:2048
.LBB49_45:
	s_or_b64 exec, exec, s[4:5]
	v_or_b32_e32 v26, 0x1500, v0
	v_cmp_gt_u32_e32 vcc, s22, v26
	v_mov_b32_e32 v26, v1
	s_and_saveexec_b64 s[4:5], vcc
	s_cbranch_execz .LBB49_47
; %bb.46:
	v_add_co_u32_e32 v26, vcc, 0x2000, v2
	s_nop 1
	v_addc_co_u32_e32 v27, vcc, 0, v3, vcc
	global_load_ushort v26, v[26:27], off offset:2560
.LBB49_47:
	s_or_b64 exec, exec, s[4:5]
	v_or_b32_e32 v27, 0x1600, v0
	v_cmp_gt_u32_e32 vcc, s22, v27
	v_mov_b32_e32 v27, v1
	s_and_saveexec_b64 s[4:5], vcc
	s_cbranch_execz .LBB49_49
; %bb.48:
	v_add_co_u32_e32 v28, vcc, 0x2000, v2
	s_nop 1
	v_addc_co_u32_e32 v29, vcc, 0, v3, vcc
	global_load_ushort v27, v[28:29], off offset:3072
.LBB49_49:
	s_or_b64 exec, exec, s[4:5]
	v_or_b32_e32 v28, 0x1700, v0
	v_cmp_gt_u32_e32 vcc, s22, v28
	s_and_saveexec_b64 s[4:5], vcc
	s_cbranch_execz .LBB49_51
; %bb.50:
	v_add_co_u32_e32 v2, vcc, 0x2000, v2
	s_nop 1
	v_addc_co_u32_e32 v3, vcc, 0, v3, vcc
	global_load_ushort v1, v[2:3], off offset:3584
.LBB49_51:
	s_or_b64 exec, exec, s[4:5]
	s_waitcnt vmcnt(0)
	ds_write_b16 v14, v4
	ds_write_b16 v14, v5 offset:512
	ds_write_b16 v14, v6 offset:1024
	;; [unrolled: 1-line block ×23, first 2 shown]
	s_waitcnt lgkmcnt(0)
	s_barrier
.LBB49_52:
	v_mul_u32_u24_e32 v22, 24, v0
	v_lshlrev_b32_e32 v1, 1, v22
	ds_read_b128 v[10:13], v1
	ds_read_b128 v[6:9], v1 offset:16
	ds_read_b128 v[2:5], v1 offset:32
	s_load_dwordx2 s[12:13], s[0:1], 0x20
	s_cmp_lg_u32 s2, 0
	v_mbcnt_lo_u32_b32 v24, -1, 0
	v_lshrrev_b32_e32 v15, 6, v0
	v_or_b32_e32 v23, 63, v0
	s_waitcnt lgkmcnt(0)
	s_barrier
	s_cbranch_scc0 .LBB49_79
; %bb.53:
	v_add_u16_sdwa v16, v10, v10 dst_sel:DWORD dst_unused:UNUSED_PAD src0_sel:WORD_1 src1_sel:DWORD
	v_add_u16_e32 v16, v16, v11
	v_add_u16_sdwa v16, v16, v11 dst_sel:DWORD dst_unused:UNUSED_PAD src0_sel:DWORD src1_sel:WORD_1
	v_add_u16_e32 v16, v16, v12
	v_add_u16_sdwa v16, v16, v12 dst_sel:DWORD dst_unused:UNUSED_PAD src0_sel:DWORD src1_sel:WORD_1
	v_add_u16_e32 v16, v16, v13
	v_add_u16_sdwa v16, v16, v13 dst_sel:DWORD dst_unused:UNUSED_PAD src0_sel:DWORD src1_sel:WORD_1
	v_add_u16_e32 v16, v16, v6
	v_add_u16_sdwa v16, v16, v6 dst_sel:DWORD dst_unused:UNUSED_PAD src0_sel:DWORD src1_sel:WORD_1
	v_add_u16_e32 v16, v16, v7
	v_add_u16_sdwa v16, v16, v7 dst_sel:DWORD dst_unused:UNUSED_PAD src0_sel:DWORD src1_sel:WORD_1
	v_add_u16_e32 v16, v16, v8
	v_add_u16_sdwa v16, v16, v8 dst_sel:DWORD dst_unused:UNUSED_PAD src0_sel:DWORD src1_sel:WORD_1
	v_add_u16_e32 v16, v16, v9
	v_add_u16_sdwa v16, v16, v9 dst_sel:DWORD dst_unused:UNUSED_PAD src0_sel:DWORD src1_sel:WORD_1
	v_add_u16_e32 v16, v16, v2
	v_add_u16_sdwa v16, v16, v2 dst_sel:DWORD dst_unused:UNUSED_PAD src0_sel:DWORD src1_sel:WORD_1
	v_add_u16_e32 v16, v16, v3
	v_add_u16_sdwa v16, v16, v3 dst_sel:DWORD dst_unused:UNUSED_PAD src0_sel:DWORD src1_sel:WORD_1
	v_add_u16_e32 v16, v16, v4
	v_add_u16_sdwa v16, v16, v4 dst_sel:DWORD dst_unused:UNUSED_PAD src0_sel:DWORD src1_sel:WORD_1
	v_add_u16_e32 v16, v16, v5
	v_mbcnt_hi_u32_b32 v17, -1, v24
	v_add_u16_sdwa v16, v16, v5 dst_sel:DWORD dst_unused:UNUSED_PAD src0_sel:DWORD src1_sel:WORD_1
	v_and_b32_e32 v18, 15, v17
	v_cmp_ne_u32_e32 vcc, 0, v18
	v_mov_b32_dpp v19, v16 row_shr:1 row_mask:0xf bank_mask:0xf
	s_nop 0
	v_cndmask_b32_e32 v19, 0, v19, vcc
	v_add_u16_e32 v16, v19, v16
	v_cmp_lt_u32_e32 vcc, 1, v18
	s_nop 0
	v_mov_b32_dpp v19, v16 row_shr:2 row_mask:0xf bank_mask:0xf
	v_cndmask_b32_e32 v19, 0, v19, vcc
	v_add_u16_e32 v16, v16, v19
	v_cmp_lt_u32_e32 vcc, 3, v18
	s_nop 0
	v_mov_b32_dpp v19, v16 row_shr:4 row_mask:0xf bank_mask:0xf
	;; [unrolled: 5-line block ×3, first 2 shown]
	v_cndmask_b32_e32 v18, 0, v19, vcc
	v_add_u16_e32 v16, v16, v18
	v_and_b32_e32 v19, 16, v17
	v_cmp_ne_u32_e32 vcc, 0, v19
	v_mov_b32_dpp v18, v16 row_bcast:15 row_mask:0xf bank_mask:0xf
	s_nop 0
	v_cndmask_b32_e32 v18, 0, v18, vcc
	v_add_u16_e32 v16, v16, v18
	v_cmp_lt_u32_e32 vcc, 31, v17
	s_nop 0
	v_mov_b32_dpp v18, v16 row_bcast:31 row_mask:0xf bank_mask:0xf
	v_cndmask_b32_e32 v18, 0, v18, vcc
	v_add_u16_e32 v16, v16, v18
	v_cmp_eq_u32_e32 vcc, v23, v0
	s_and_saveexec_b64 s[4:5], vcc
	s_cbranch_execz .LBB49_55
; %bb.54:
	v_lshlrev_b32_e32 v18, 1, v15
	ds_write_b16 v18, v16
.LBB49_55:
	s_or_b64 exec, exec, s[4:5]
	v_cmp_gt_u32_e32 vcc, 4, v0
	s_waitcnt lgkmcnt(0)
	s_barrier
	s_and_saveexec_b64 s[4:5], vcc
	s_cbranch_execz .LBB49_57
; %bb.56:
	ds_read_u16 v18, v14
	v_and_b32_e32 v19, 3, v17
	v_cmp_ne_u32_e32 vcc, 0, v19
	s_waitcnt lgkmcnt(0)
	v_and_b32_e32 v20, 0xffff, v18
	s_nop 1
	v_mov_b32_dpp v20, v20 row_shr:1 row_mask:0xf bank_mask:0xf
	v_cndmask_b32_e32 v20, 0, v20, vcc
	v_add_u16_e32 v18, v20, v18
	v_cmp_lt_u32_e32 vcc, 1, v19
	s_nop 0
	v_mov_b32_dpp v20, v18 row_shr:2 row_mask:0xf bank_mask:0xf
	v_cndmask_b32_e32 v19, 0, v20, vcc
	v_add_u16_e32 v18, v18, v19
	ds_write_b16 v14, v18
.LBB49_57:
	s_or_b64 exec, exec, s[4:5]
	v_cmp_gt_u32_e32 vcc, 64, v0
	v_cmp_lt_u32_e64 s[4:5], 63, v0
	s_waitcnt lgkmcnt(0)
	s_barrier
	s_waitcnt lgkmcnt(0)
                                        ; implicit-def: $vgpr25
	s_and_saveexec_b64 s[6:7], s[4:5]
	s_cbranch_execz .LBB49_59
; %bb.58:
	v_lshl_add_u32 v18, v15, 1, -2
	ds_read_u16 v25, v18
	s_waitcnt lgkmcnt(0)
	v_add_u16_e32 v16, v25, v16
.LBB49_59:
	s_or_b64 exec, exec, s[6:7]
	v_add_u32_e32 v18, -1, v17
	v_and_b32_e32 v19, 64, v17
	v_cmp_lt_i32_e64 s[4:5], v18, v19
	v_and_b32_e32 v16, 0xffff, v16
	s_nop 0
	v_cndmask_b32_e64 v18, v18, v17, s[4:5]
	v_lshlrev_b32_e32 v18, 2, v18
	ds_bpermute_b32 v26, v18, v16
	v_cmp_eq_u32_e64 s[4:5], 0, v17
	s_and_saveexec_b64 s[20:21], vcc
	s_cbranch_execz .LBB49_78
; %bb.60:
	v_mov_b32_e32 v19, 0
	ds_read_u16 v27, v19 offset:6
	s_and_saveexec_b64 s[6:7], s[4:5]
	s_cbranch_execz .LBB49_62
; %bb.61:
	s_add_i32 s8, s2, 64
	s_mov_b32 s9, 0
	s_lshl_b64 s[8:9], s[8:9], 2
	s_add_u32 s8, s12, s8
	s_addc_u32 s9, s13, s9
	s_waitcnt lgkmcnt(0)
	v_or_b32_e32 v16, 0x10000, v27
	global_store_dword v19, v16, s[8:9] sc1
.LBB49_62:
	s_or_b64 exec, exec, s[6:7]
	v_xad_u32 v16, v17, -1, s2
	v_add_u32_e32 v18, 64, v16
	v_lshl_add_u64 v[20:21], v[18:19], 2, s[12:13]
	global_load_dword v40, v[20:21], off sc1
	s_waitcnt vmcnt(0)
	v_lshrrev_b32_e32 v28, 16, v40
	v_cmp_eq_u16_sdwa s[8:9], v28, v19 src0_sel:BYTE_0 src1_sel:DWORD
	s_and_saveexec_b64 s[6:7], s[8:9]
	s_cbranch_execz .LBB49_66
; %bb.63:
	s_mov_b64 s[8:9], 0
	v_mov_b32_e32 v18, 0
.LBB49_64:                              ; =>This Inner Loop Header: Depth=1
	global_load_dword v40, v[20:21], off sc1
	s_waitcnt vmcnt(0)
	v_lshrrev_b32_e32 v28, 16, v40
	v_cmp_ne_u16_sdwa s[10:11], v28, v18 src0_sel:BYTE_0 src1_sel:DWORD
	s_or_b64 s[8:9], s[10:11], s[8:9]
	s_andn2_b64 exec, exec, s[8:9]
	s_cbranch_execnz .LBB49_64
; %bb.65:
	s_or_b64 exec, exec, s[8:9]
.LBB49_66:
	s_or_b64 exec, exec, s[6:7]
	v_and_b32_e32 v41, 63, v17
	v_cmp_ne_u32_e32 vcc, 63, v41
	v_mov_b32_e32 v29, 2
	v_cmp_eq_u16_sdwa s[6:7], v28, v29 src0_sel:BYTE_0 src1_sel:DWORD
	v_addc_co_u32_e32 v30, vcc, 0, v17, vcc
	v_lshlrev_b64 v[18:19], v17, -1
	v_and_b32_e32 v32, 0xffff, v40
	v_lshlrev_b32_e32 v30, 2, v30
	v_and_b32_e32 v20, s7, v19
	ds_bpermute_b32 v33, v30, v32
	v_or_b32_e32 v20, 0x80000000, v20
	v_and_b32_e32 v21, s6, v18
	v_ffbl_b32_e32 v20, v20
	v_add_u32_e32 v20, 32, v20
	v_ffbl_b32_e32 v21, v21
	v_min_u32_e32 v20, v21, v20
	v_add_u32_e32 v31, 1, v17
	s_waitcnt lgkmcnt(0)
	v_add_u16_e32 v21, v33, v40
	v_cmp_le_u32_e32 vcc, v31, v20
	v_cmp_gt_u32_e64 s[6:7], 62, v41
	v_add_u32_e32 v33, 2, v17
	v_cndmask_b32_e32 v34, v32, v21, vcc
	v_cndmask_b32_e64 v32, 0, 1, s[6:7]
	v_lshlrev_b32_e32 v32, 1, v32
	v_add_lshl_u32 v32, v32, v17, 2
	ds_bpermute_b32 v35, v32, v34
	v_cndmask_b32_e32 v21, v40, v21, vcc
	v_cmp_le_u32_e64 s[6:7], v33, v20
	v_cmp_gt_u32_e64 s[8:9], 60, v41
	v_cmp_gt_u32_e64 s[10:11], 56, v41
	s_waitcnt lgkmcnt(0)
	v_add_u16_e32 v35, v21, v35
	v_cndmask_b32_e64 v36, v34, v35, s[6:7]
	v_cndmask_b32_e64 v34, 0, 1, s[8:9]
	v_lshlrev_b32_e32 v34, 2, v34
	v_add_lshl_u32 v34, v34, v17, 2
	ds_bpermute_b32 v37, v34, v36
	v_cndmask_b32_e64 v21, v21, v35, s[6:7]
	v_add_u32_e32 v35, 4, v17
	v_cmp_le_u32_e64 s[8:9], v35, v20
	s_waitcnt lgkmcnt(0)
	v_add_u16_e32 v37, v21, v37
	v_cndmask_b32_e64 v38, v36, v37, s[8:9]
	v_cndmask_b32_e64 v36, 0, 1, s[10:11]
	v_lshlrev_b32_e32 v36, 3, v36
	v_add_lshl_u32 v36, v36, v17, 2
	ds_bpermute_b32 v39, v36, v38
	v_cndmask_b32_e64 v21, v21, v37, s[8:9]
	v_add_u32_e32 v37, 8, v17
	s_or_b64 s[10:11], vcc, s[6:7]
	v_cmp_le_u32_e32 vcc, v37, v20
	s_waitcnt lgkmcnt(0)
	v_add_u16_e32 v39, v21, v39
	v_cmp_gt_u32_e64 s[6:7], 48, v41
	v_cndmask_b32_e32 v42, v38, v39, vcc
	v_cndmask_b32_e32 v21, v21, v39, vcc
	v_cndmask_b32_e64 v38, 0, 1, s[6:7]
	v_lshlrev_b32_e32 v38, 4, v38
	v_add_lshl_u32 v38, v38, v17, 2
	ds_bpermute_b32 v43, v38, v42
	s_or_b64 s[6:7], s[8:9], s[10:11]
	s_or_b64 s[8:9], vcc, s[6:7]
	v_cmp_gt_u32_e64 s[6:7], 32, v41
	v_add_u32_e32 v39, 16, v17
	s_waitcnt lgkmcnt(0)
	v_add_u16_e32 v43, v21, v43
	v_cndmask_b32_e64 v41, 0, 1, s[6:7]
	v_cmp_le_u32_e32 vcc, v39, v20
	v_lshlrev_b32_e32 v41, 5, v41
	v_add_lshl_u32 v41, v41, v17, 2
	v_cndmask_b32_e32 v42, v42, v43, vcc
	ds_bpermute_b32 v44, v41, v42
	v_add_u32_e32 v42, 32, v17
	s_or_b64 s[6:7], vcc, s[8:9]
	v_cndmask_b32_e32 v17, v21, v43, vcc
	v_cmp_le_u32_e32 vcc, v42, v20
	s_waitcnt lgkmcnt(0)
	s_nop 0
	v_cndmask_b32_e32 v20, 0, v44, vcc
	v_add_u16_e32 v17, v17, v20
	s_or_b64 vcc, vcc, s[6:7]
	v_cndmask_b32_e32 v20, v40, v17, vcc
	v_mov_b32_e32 v17, 0
	s_branch .LBB49_68
.LBB49_67:                              ;   in Loop: Header=BB49_68 Depth=1
	s_or_b64 exec, exec, s[6:7]
	v_cmp_eq_u16_sdwa s[6:7], v28, v29 src0_sel:BYTE_0 src1_sel:DWORD
	v_and_b32_e32 v44, 0xffff, v43
	ds_bpermute_b32 v45, v30, v44
	v_and_b32_e32 v20, s7, v19
	v_or_b32_e32 v20, 0x80000000, v20
	v_and_b32_e32 v21, s6, v18
	v_ffbl_b32_e32 v20, v20
	v_add_u32_e32 v20, 32, v20
	v_ffbl_b32_e32 v21, v21
	v_min_u32_e32 v20, v21, v20
	s_waitcnt lgkmcnt(0)
	v_add_u16_e32 v21, v45, v43
	v_cmp_le_u32_e32 vcc, v31, v20
	v_cmp_le_u32_e64 s[6:7], v33, v20
	v_cmp_le_u32_e64 s[8:9], v35, v20
	v_cndmask_b32_e32 v44, v44, v21, vcc
	ds_bpermute_b32 v45, v32, v44
	v_cndmask_b32_e32 v21, v43, v21, vcc
	v_cmp_le_u32_e64 s[10:11], v37, v20
	v_subrev_u32_e32 v16, 64, v16
	s_waitcnt lgkmcnt(0)
	v_add_u16_e32 v45, v21, v45
	v_cndmask_b32_e64 v44, v44, v45, s[6:7]
	ds_bpermute_b32 v46, v34, v44
	v_cndmask_b32_e64 v21, v21, v45, s[6:7]
	s_or_b64 s[6:7], vcc, s[6:7]
	v_cmp_le_u32_e32 vcc, v39, v20
	s_or_b64 s[6:7], s[8:9], s[6:7]
	s_waitcnt lgkmcnt(0)
	v_add_u16_e32 v45, v21, v46
	v_cndmask_b32_e64 v44, v44, v45, s[8:9]
	ds_bpermute_b32 v46, v36, v44
	v_cndmask_b32_e64 v21, v21, v45, s[8:9]
	s_or_b64 s[6:7], s[10:11], s[6:7]
	s_or_b64 s[6:7], vcc, s[6:7]
	s_waitcnt lgkmcnt(0)
	v_add_u16_e32 v45, v21, v46
	v_cndmask_b32_e64 v44, v44, v45, s[10:11]
	ds_bpermute_b32 v46, v38, v44
	v_cndmask_b32_e64 v21, v21, v45, s[10:11]
	s_waitcnt lgkmcnt(0)
	v_add_u16_e32 v45, v21, v46
	v_cndmask_b32_e32 v44, v44, v45, vcc
	ds_bpermute_b32 v44, v41, v44
	v_cndmask_b32_e32 v21, v21, v45, vcc
	v_cmp_le_u32_e32 vcc, v42, v20
	s_waitcnt lgkmcnt(0)
	s_nop 0
	v_cndmask_b32_e32 v20, 0, v44, vcc
	v_add_u16_e32 v20, v21, v20
	s_or_b64 vcc, vcc, s[6:7]
	v_cndmask_b32_e32 v20, v43, v20, vcc
	v_add_u16_e32 v20, v20, v40
.LBB49_68:                              ; =>This Loop Header: Depth=1
                                        ;     Child Loop BB49_71 Depth 2
	v_cmp_ne_u16_sdwa s[6:7], v28, v29 src0_sel:BYTE_0 src1_sel:DWORD
	v_mov_b32_e32 v40, v20
	s_nop 0
	v_cndmask_b32_e64 v21, 0, 1, s[6:7]
	;;#ASMSTART
	;;#ASMEND
	s_nop 0
	v_cmp_ne_u32_e32 vcc, 0, v21
	s_cmp_lg_u64 vcc, exec
	s_cbranch_scc1 .LBB49_73
; %bb.69:                               ;   in Loop: Header=BB49_68 Depth=1
	v_lshl_add_u64 v[20:21], v[16:17], 2, s[12:13]
	global_load_dword v43, v[20:21], off sc1
	s_waitcnt vmcnt(0)
	v_lshrrev_b32_e32 v28, 16, v43
	v_cmp_eq_u16_sdwa s[8:9], v28, v17 src0_sel:BYTE_0 src1_sel:DWORD
	s_and_saveexec_b64 s[6:7], s[8:9]
	s_cbranch_execz .LBB49_67
; %bb.70:                               ;   in Loop: Header=BB49_68 Depth=1
	s_mov_b64 s[8:9], 0
.LBB49_71:                              ;   Parent Loop BB49_68 Depth=1
                                        ; =>  This Inner Loop Header: Depth=2
	global_load_dword v43, v[20:21], off sc1
	s_waitcnt vmcnt(0)
	v_lshrrev_b32_e32 v28, 16, v43
	v_cmp_ne_u16_sdwa s[10:11], v28, v17 src0_sel:BYTE_0 src1_sel:DWORD
	s_or_b64 s[8:9], s[10:11], s[8:9]
	s_andn2_b64 exec, exec, s[8:9]
	s_cbranch_execnz .LBB49_71
; %bb.72:                               ;   in Loop: Header=BB49_68 Depth=1
	s_or_b64 exec, exec, s[8:9]
	s_branch .LBB49_67
.LBB49_73:                              ;   in Loop: Header=BB49_68 Depth=1
                                        ; implicit-def: $vgpr20
                                        ; implicit-def: $vgpr28
	s_cbranch_execz .LBB49_68
; %bb.74:
	s_and_saveexec_b64 s[6:7], s[4:5]
	s_cbranch_execz .LBB49_76
; %bb.75:
	s_add_i32 s2, s2, 64
	s_mov_b32 s3, 0
	s_lshl_b64 s[2:3], s[2:3], 2
	s_add_u32 s2, s12, s2
	v_add_u16_e32 v17, v40, v27
	s_addc_u32 s3, s13, s3
	v_mov_b32_e32 v16, 0
	v_or_b32_e32 v17, 0x20000, v17
	global_store_dword v16, v17, s[2:3] sc1
.LBB49_76:
	s_or_b64 exec, exec, s[6:7]
	v_cmp_eq_u32_e32 vcc, 0, v0
	s_and_b64 exec, exec, vcc
	s_cbranch_execz .LBB49_78
; %bb.77:
	v_mov_b32_e32 v16, 0
	ds_write_b16 v16, v40 offset:6
.LBB49_78:
	s_or_b64 exec, exec, s[20:21]
	v_mov_b32_e32 v16, 0
	s_waitcnt lgkmcnt(0)
	s_barrier
	ds_read_u16 v16, v16 offset:6
	v_cndmask_b32_e64 v17, v26, v25, s[4:5]
	v_cmp_ne_u32_e32 vcc, 0, v0
	s_nop 1
	v_cndmask_b32_e32 v17, 0, v17, vcc
	v_add_u16_e32 v17, v17, v10
	s_waitcnt lgkmcnt(0)
	v_add_u16_e32 v16, v17, v16
	s_load_dwordx4 s[4:7], s[0:1], 0x30
	s_branch .LBB49_91
.LBB49_79:
                                        ; implicit-def: $vgpr16
	s_load_dwordx4 s[4:7], s[0:1], 0x30
	s_cbranch_execz .LBB49_91
; %bb.80:
	s_load_dword s2, s[0:1], 0x40
	v_cmp_eq_u32_e32 vcc, 0, v0
	v_mov_b32_e32 v16, v10
	s_waitcnt lgkmcnt(0)
	s_bitcmp1_b32 s2, 0
	s_cselect_b64 s[2:3], -1, 0
	s_and_b64 s[8:9], vcc, s[2:3]
	s_and_saveexec_b64 s[2:3], s[8:9]
	s_cbranch_execz .LBB49_82
; %bb.81:
	v_mov_b32_e32 v16, 0
	global_load_ushort v16, v16, s[4:5]
	s_waitcnt vmcnt(0)
	v_add_u16_e32 v16, v16, v10
.LBB49_82:
	s_or_b64 exec, exec, s[2:3]
	v_add_u16_sdwa v17, v11, v10 dst_sel:DWORD dst_unused:UNUSED_PAD src0_sel:DWORD src1_sel:WORD_1
	v_add_u16_sdwa v17, v17, v11 dst_sel:DWORD dst_unused:UNUSED_PAD src0_sel:DWORD src1_sel:WORD_1
	v_add_u16_e32 v17, v17, v12
	v_add_u16_sdwa v17, v17, v12 dst_sel:DWORD dst_unused:UNUSED_PAD src0_sel:DWORD src1_sel:WORD_1
	v_add_u16_e32 v17, v17, v13
	;; [unrolled: 2-line block ×11, first 2 shown]
	v_mbcnt_hi_u32_b32 v17, -1, v24
	v_and_b32_e32 v19, 15, v17
	v_mov_b32_dpp v20, v18 row_shr:1 row_mask:0xf bank_mask:0xf
	v_cmp_ne_u32_e64 s[2:3], 0, v19
	s_nop 1
	v_cndmask_b32_e64 v20, 0, v20, s[2:3]
	v_add_u16_e32 v18, v18, v20
	v_cmp_lt_u32_e64 s[2:3], 1, v19
	s_nop 0
	v_mov_b32_dpp v20, v18 row_shr:2 row_mask:0xf bank_mask:0xf
	v_cndmask_b32_e64 v20, 0, v20, s[2:3]
	v_add_u16_e32 v18, v18, v20
	v_cmp_lt_u32_e64 s[2:3], 3, v19
	s_nop 0
	v_mov_b32_dpp v20, v18 row_shr:4 row_mask:0xf bank_mask:0xf
	;; [unrolled: 5-line block ×3, first 2 shown]
	v_cndmask_b32_e64 v19, 0, v20, s[2:3]
	v_add_u16_e32 v18, v18, v19
	v_and_b32_e32 v20, 16, v17
	v_cmp_ne_u32_e64 s[2:3], 0, v20
	v_mov_b32_dpp v19, v18 row_bcast:15 row_mask:0xf bank_mask:0xf
	s_nop 0
	v_cndmask_b32_e64 v19, 0, v19, s[2:3]
	v_add_u16_e32 v18, v18, v19
	v_cmp_lt_u32_e64 s[2:3], 31, v17
	s_nop 0
	v_mov_b32_dpp v19, v18 row_bcast:31 row_mask:0xf bank_mask:0xf
	v_cndmask_b32_e64 v19, 0, v19, s[2:3]
	v_add_u16_e32 v18, v18, v19
	v_cmp_eq_u32_e64 s[2:3], v23, v0
	s_and_saveexec_b64 s[4:5], s[2:3]
	s_cbranch_execz .LBB49_84
; %bb.83:
	v_lshlrev_b32_e32 v19, 1, v15
	ds_write_b16 v19, v18
.LBB49_84:
	s_or_b64 exec, exec, s[4:5]
	v_cmp_gt_u32_e64 s[2:3], 4, v0
	s_waitcnt lgkmcnt(0)
	s_barrier
	s_and_saveexec_b64 s[4:5], s[2:3]
	s_cbranch_execz .LBB49_86
; %bb.85:
	ds_read_u16 v19, v14
	v_and_b32_e32 v20, 3, v17
	v_cmp_ne_u32_e64 s[2:3], 0, v20
	s_waitcnt lgkmcnt(0)
	v_and_b32_e32 v21, 0xffff, v19
	s_nop 1
	v_mov_b32_dpp v21, v21 row_shr:1 row_mask:0xf bank_mask:0xf
	v_cndmask_b32_e64 v21, 0, v21, s[2:3]
	v_add_u16_e32 v19, v21, v19
	v_cmp_lt_u32_e64 s[2:3], 1, v20
	s_nop 0
	v_mov_b32_dpp v21, v19 row_shr:2 row_mask:0xf bank_mask:0xf
	v_cndmask_b32_e64 v20, 0, v21, s[2:3]
	v_add_u16_e32 v19, v19, v20
	ds_write_b16 v14, v19
.LBB49_86:
	s_or_b64 exec, exec, s[4:5]
	v_cmp_lt_u32_e64 s[2:3], 63, v0
	s_waitcnt lgkmcnt(0)
	s_barrier
	s_waitcnt lgkmcnt(0)
                                        ; implicit-def: $vgpr19
	s_and_saveexec_b64 s[4:5], s[2:3]
	s_cbranch_execz .LBB49_88
; %bb.87:
	v_lshl_add_u32 v15, v15, 1, -2
	ds_read_u16 v19, v15
	s_waitcnt lgkmcnt(0)
	v_add_u16_e32 v18, v19, v18
.LBB49_88:
	s_or_b64 exec, exec, s[4:5]
	v_and_b32_e32 v15, 0xffff, v18
	v_add_u32_e32 v18, -1, v17
	v_and_b32_e32 v20, 64, v17
	v_cmp_lt_i32_e64 s[2:3], v18, v20
	s_nop 1
	v_cndmask_b32_e64 v18, v18, v17, s[2:3]
	v_lshlrev_b32_e32 v18, 2, v18
	ds_bpermute_b32 v15, v18, v15
	v_cmp_eq_u32_e64 s[2:3], 0, v17
	s_waitcnt lgkmcnt(0)
	s_nop 0
	v_cndmask_b32_e64 v15, v15, v19, s[2:3]
	v_cndmask_b32_e64 v15, v15, 0, vcc
	s_and_saveexec_b64 s[2:3], vcc
	s_cbranch_execz .LBB49_90
; %bb.89:
	v_mov_b32_e32 v17, 0
	ds_read_u16 v18, v17 offset:6
	s_waitcnt lgkmcnt(0)
	v_or_b32_e32 v18, 0x20000, v18
	global_store_dword v17, v18, s[12:13] offset:256 sc1
.LBB49_90:
	s_or_b64 exec, exec, s[2:3]
	v_add_u16_e32 v16, v15, v16
.LBB49_91:
	v_add_u16_sdwa v17, v16, v10 dst_sel:DWORD dst_unused:UNUSED_PAD src0_sel:DWORD src1_sel:WORD_1
	v_add_u16_e32 v18, v17, v11
	v_add_u16_sdwa v19, v18, v11 dst_sel:DWORD dst_unused:UNUSED_PAD src0_sel:DWORD src1_sel:WORD_1
	v_add_u16_e32 v21, v19, v12
	;; [unrolled: 2-line block ×11, first 2 shown]
	s_add_u32 s2, s14, s18
	v_add_u16_sdwa v5, v9, v5 dst_sel:DWORD dst_unused:UNUSED_PAD src0_sel:DWORD src1_sel:WORD_1
	s_addc_u32 s3, s15, s19
	s_waitcnt lgkmcnt(0)
	s_mov_b64 s[4:5], -1
	s_and_b64 vcc, exec, s[16:17]
	s_barrier
	s_cbranch_vccz .LBB49_93
; %bb.92:
	s_mov_b32 s4, 0x5040100
	v_perm_b32 v33, v28, v26, s4
	v_perm_b32 v32, v24, v21, s4
	;; [unrolled: 1-line block ×4, first 2 shown]
	ds_write_b128 v1, v[30:33]
	v_perm_b32 v33, v27, v25, s4
	v_perm_b32 v32, v23, v20, s4
	v_perm_b32 v31, v13, v12, s4
	v_perm_b32 v30, v11, v10, s4
	ds_write_b128 v1, v[30:33] offset:16
	v_perm_b32 v33, v5, v9, s4
	v_perm_b32 v32, v4, v8, s4
	;; [unrolled: 1-line block ×4, first 2 shown]
	v_mov_b32_e32 v15, 0
	ds_write_b128 v1, v[30:33] offset:32
	s_waitcnt lgkmcnt(0)
	s_barrier
	ds_read_u16 v29, v14
	ds_read_u16 v32, v14 offset:512
	ds_read_u16 v33, v14 offset:1024
	;; [unrolled: 1-line block ×23, first 2 shown]
	v_lshl_add_u64 v[30:31], s[2:3], 0, v[14:15]
	s_movk_i32 s4, 0x1000
	s_waitcnt lgkmcnt(14)
	global_store_short v14, v29, s[2:3]
	global_store_short v14, v32, s[2:3] offset:512
	global_store_short v14, v33, s[2:3] offset:1024
	;; [unrolled: 1-line block ×7, first 2 shown]
	v_add_co_u32_e32 v32, vcc, s4, v30
	s_mov_b64 s[4:5], 0
	s_nop 0
	v_addc_co_u32_e32 v33, vcc, 0, v31, vcc
	v_add_co_u32_e32 v30, vcc, 0x2000, v30
	global_store_short v[32:33], v39, off
	global_store_short v[32:33], v40, off offset:512
	s_waitcnt lgkmcnt(13)
	global_store_short v[32:33], v41, off offset:1024
	s_waitcnt lgkmcnt(12)
	;; [unrolled: 2-line block ×6, first 2 shown]
	global_store_short v[32:33], v46, off offset:3584
	v_addc_co_u32_e32 v31, vcc, 0, v31, vcc
	s_waitcnt lgkmcnt(7)
	global_store_short v[30:31], v47, off
	s_waitcnt lgkmcnt(6)
	global_store_short v[30:31], v48, off offset:512
	s_waitcnt lgkmcnt(5)
	global_store_short v[30:31], v49, off offset:1024
	;; [unrolled: 2-line block ×7, first 2 shown]
.LBB49_93:
	s_andn2_b64 vcc, exec, s[4:5]
	s_cbranch_vccnz .LBB49_150
; %bb.94:
	s_mov_b32 s4, 0x5040100
	v_perm_b32 v31, v28, v26, s4
	v_perm_b32 v30, v24, v21, s4
	;; [unrolled: 1-line block ×12, first 2 shown]
	ds_write_b128 v1, v[28:31]
	ds_write_b128 v1, v[16:19] offset:16
	ds_write_b128 v1, v[2:5] offset:32
	s_waitcnt lgkmcnt(0)
	s_barrier
	ds_read_u16 v5, v14
	ds_read_u16 v4, v14 offset:512
	ds_read_u16 v7, v14 offset:1024
	;; [unrolled: 1-line block ×23, first 2 shown]
	v_mov_b32_e32 v15, 0
	v_lshl_add_u64 v[2:3], s[2:3], 0, v[14:15]
	v_cmp_gt_u32_e32 vcc, s22, v0
	s_and_saveexec_b64 s[2:3], vcc
	s_cbranch_execz .LBB49_96
; %bb.95:
	s_waitcnt lgkmcnt(14)
	global_store_short v[2:3], v5, off
.LBB49_96:
	s_or_b64 exec, exec, s[2:3]
	v_or_b32_e32 v1, 0x100, v0
	v_cmp_gt_u32_e32 vcc, s22, v1
	s_and_saveexec_b64 s[2:3], vcc
	s_cbranch_execz .LBB49_98
; %bb.97:
	s_waitcnt lgkmcnt(14)
	global_store_short v[2:3], v4, off offset:512
.LBB49_98:
	s_or_b64 exec, exec, s[2:3]
	v_or_b32_e32 v1, 0x200, v0
	v_cmp_gt_u32_e32 vcc, s22, v1
	s_and_saveexec_b64 s[2:3], vcc
	s_cbranch_execz .LBB49_100
; %bb.99:
	s_waitcnt lgkmcnt(14)
	global_store_short v[2:3], v7, off offset:1024
.LBB49_100:
	;; [unrolled: 9-line block ×7, first 2 shown]
	s_or_b64 exec, exec, s[2:3]
	v_or_b32_e32 v1, 0x800, v0
	v_cmp_gt_u32_e32 vcc, s22, v1
	s_and_saveexec_b64 s[2:3], vcc
	s_cbranch_execz .LBB49_112
; %bb.111:
	v_add_co_u32_e32 v32, vcc, 0x1000, v2
	s_nop 1
	v_addc_co_u32_e32 v33, vcc, 0, v3, vcc
	s_waitcnt lgkmcnt(14)
	global_store_short v[32:33], v18, off
.LBB49_112:
	s_or_b64 exec, exec, s[2:3]
	v_or_b32_e32 v1, 0x900, v0
	v_cmp_gt_u32_e32 vcc, s22, v1
	s_and_saveexec_b64 s[2:3], vcc
	s_cbranch_execz .LBB49_114
; %bb.113:
	v_add_co_u32_e32 v32, vcc, 0x1000, v2
	s_nop 1
	v_addc_co_u32_e32 v33, vcc, 0, v3, vcc
	s_waitcnt lgkmcnt(14)
	global_store_short v[32:33], v26, off offset:512
.LBB49_114:
	s_or_b64 exec, exec, s[2:3]
	v_or_b32_e32 v1, 0xa00, v0
	v_cmp_gt_u32_e32 vcc, s22, v1
	s_and_saveexec_b64 s[2:3], vcc
	s_cbranch_execz .LBB49_116
; %bb.115:
	v_add_co_u32_e32 v32, vcc, 0x1000, v2
	s_nop 1
	v_addc_co_u32_e32 v33, vcc, 0, v3, vcc
	s_waitcnt lgkmcnt(13)
	global_store_short v[32:33], v23, off offset:1024
.LBB49_116:
	;; [unrolled: 12-line block ×7, first 2 shown]
	s_or_b64 exec, exec, s[2:3]
	v_or_b32_e32 v1, 0x1000, v0
	v_cmp_gt_u32_e32 vcc, s22, v1
	s_and_saveexec_b64 s[2:3], vcc
	s_cbranch_execz .LBB49_128
; %bb.127:
	v_add_co_u32_e32 v32, vcc, 0x2000, v2
	s_nop 1
	v_addc_co_u32_e32 v33, vcc, 0, v3, vcc
	s_waitcnt lgkmcnt(7)
	global_store_short v[32:33], v25, off
.LBB49_128:
	s_or_b64 exec, exec, s[2:3]
	v_or_b32_e32 v1, 0x1100, v0
	v_cmp_gt_u32_e32 vcc, s22, v1
	s_and_saveexec_b64 s[2:3], vcc
	s_cbranch_execz .LBB49_130
; %bb.129:
	v_add_co_u32_e32 v32, vcc, 0x2000, v2
	s_nop 1
	v_addc_co_u32_e32 v33, vcc, 0, v3, vcc
	s_waitcnt lgkmcnt(6)
	global_store_short v[32:33], v28, off offset:512
.LBB49_130:
	s_or_b64 exec, exec, s[2:3]
	v_or_b32_e32 v1, 0x1200, v0
	v_cmp_gt_u32_e32 vcc, s22, v1
	s_and_saveexec_b64 s[2:3], vcc
	s_cbranch_execz .LBB49_132
; %bb.131:
	v_add_co_u32_e32 v32, vcc, 0x2000, v2
	s_nop 1
	v_addc_co_u32_e32 v33, vcc, 0, v3, vcc
	s_waitcnt lgkmcnt(5)
	global_store_short v[32:33], v27, off offset:1024
.LBB49_132:
	;; [unrolled: 12-line block ×7, first 2 shown]
	s_or_b64 exec, exec, s[2:3]
	s_load_dword s0, s[0:1], 0x40
	s_waitcnt lgkmcnt(0)
	s_bfe_u32 s0, s0, 0x10008
	s_cmp_eq_u32 s0, 0
	s_cbranch_scc1 .LBB49_150
; %bb.143:
	s_add_u32 s0, s22, -1
	s_addc_u32 s1, s23, -1
	s_add_u32 s2, 0, 0xaaaa0000
	s_addc_u32 s3, 0, 42
	s_add_i32 s3, s3, 0xaaaaa80
	s_mul_hi_u32 s9, s2, 0xffffffe8
	s_sub_i32 s9, s9, s2
	s_mul_i32 s10, s3, 0xffffffe8
	s_mul_i32 s4, s2, 0xffffffe8
	s_add_i32 s9, s9, s10
	s_mul_hi_u32 s5, s3, s4
	s_mul_i32 s8, s3, s4
	s_mul_i32 s11, s2, s9
	s_mul_hi_u32 s4, s2, s4
	s_mul_hi_u32 s10, s2, s9
	s_add_u32 s4, s4, s11
	s_addc_u32 s10, 0, s10
	s_add_u32 s4, s4, s8
	s_mul_hi_u32 s11, s3, s9
	s_addc_u32 s4, s10, s5
	s_addc_u32 s5, s11, 0
	s_mul_i32 s8, s3, s9
	s_add_u32 s4, s4, s8
	v_mov_b32_e32 v2, s4
	s_addc_u32 s5, 0, s5
	v_add_co_u32_e32 v2, vcc, s2, v2
	s_cmp_lg_u64 vcc, 0
	s_addc_u32 s2, s3, s5
	v_readfirstlane_b32 s5, v2
	s_mul_i32 s4, s0, s2
	s_mul_hi_u32 s8, s0, s5
	s_mul_hi_u32 s3, s0, s2
	s_add_u32 s4, s8, s4
	s_addc_u32 s3, 0, s3
	s_mul_hi_u32 s9, s1, s5
	s_mul_i32 s5, s1, s5
	s_add_u32 s4, s4, s5
	s_mul_hi_u32 s8, s1, s2
	s_addc_u32 s3, s3, s9
	s_addc_u32 s4, s8, 0
	s_mul_i32 s2, s1, s2
	s_add_u32 s2, s3, s2
	s_addc_u32 s3, 0, s4
	s_add_u32 s4, s2, 1
	s_addc_u32 s5, s3, 0
	s_add_u32 s8, s2, 2
	s_mul_i32 s10, s3, 24
	s_mul_hi_u32 s11, s2, 24
	s_addc_u32 s9, s3, 0
	s_add_i32 s11, s11, s10
	s_mul_i32 s10, s2, 24
	v_mov_b32_e32 v2, s10
	v_sub_co_u32_e32 v2, vcc, s0, v2
	s_cmp_lg_u64 vcc, 0
	s_subb_u32 s10, s1, s11
	v_subrev_co_u32_e32 v3, vcc, 24, v2
	s_cmp_lg_u64 vcc, 0
	s_subb_u32 s11, s10, 0
	v_readfirstlane_b32 s12, v3
	s_cmp_gt_u32 s12, 23
	s_cselect_b32 s12, -1, 0
	s_cmp_eq_u32 s11, 0
	s_cselect_b32 s11, s12, -1
	s_cmp_lg_u32 s11, 0
	s_cselect_b32 s4, s8, s4
	v_readfirstlane_b32 s8, v2
	s_cselect_b32 s5, s9, s5
	s_cmp_gt_u32 s8, 23
	s_cselect_b32 s8, -1, 0
	s_cmp_eq_u32 s10, 0
	s_cselect_b32 s8, s8, -1
	s_cmp_lg_u32 s8, 0
	v_mov_b32_e32 v1, v15
	s_cselect_b32 s3, s5, s3
	s_cselect_b32 s2, s4, s2
	v_cmp_eq_u64_e32 vcc, s[2:3], v[0:1]
	s_and_saveexec_b64 s[2:3], vcc
	s_cbranch_execz .LBB49_150
; %bb.144:
	v_mul_hi_u32_u24_e32 v1, 24, v0
	v_mov_b32_e32 v2, s1
	v_sub_co_u32_e32 v0, vcc, s0, v22
	s_mov_b64 s[0:1], 0
	s_nop 0
	v_subb_co_u32_e32 v1, vcc, v2, v1, vcc
	v_cmp_lt_i64_e32 vcc, 11, v[0:1]
	s_mov_b64 s[10:11], 0
	s_mov_b64 s[8:9], 0
	;; [unrolled: 1-line block ×3, first 2 shown]
	s_and_saveexec_b64 s[2:3], vcc
	s_xor_b64 s[2:3], exec, s[2:3]
	s_cbranch_execnz .LBB49_151
; %bb.145:
	s_andn2_saveexec_b64 s[2:3], s[2:3]
	s_cbranch_execnz .LBB49_196
.LBB49_146:
	s_or_b64 exec, exec, s[2:3]
	s_and_saveexec_b64 s[2:3], s[10:11]
	s_cbranch_execnz .LBB49_213
.LBB49_147:
	s_or_b64 exec, exec, s[2:3]
	s_and_saveexec_b64 s[2:3], s[8:9]
	s_cbranch_execnz .LBB49_214
.LBB49_148:
	s_or_b64 exec, exec, s[2:3]
	s_and_saveexec_b64 s[2:3], s[4:5]
	s_xor_b64 s[2:3], exec, s[2:3]
	s_cbranch_execnz .LBB49_215
.LBB49_149:
	s_or_b64 exec, exec, s[2:3]
	s_and_b64 exec, exec, s[0:1]
	s_cbranch_execnz .LBB49_216
.LBB49_150:
	s_endpgm
.LBB49_151:
	v_cmp_lt_i64_e32 vcc, 17, v[0:1]
	s_and_saveexec_b64 s[12:13], vcc
	s_xor_b64 s[12:13], exec, s[12:13]
	s_cbranch_execz .LBB49_173
; %bb.152:
	v_cmp_lt_i64_e32 vcc, 20, v[0:1]
                                        ; implicit-def: $vgpr10
	s_and_saveexec_b64 s[14:15], vcc
	s_xor_b64 s[14:15], exec, s[14:15]
	s_cbranch_execz .LBB49_162
; %bb.153:
	v_cmp_lt_i64_e32 vcc, 21, v[0:1]
	s_mov_b64 s[16:17], 0
                                        ; implicit-def: $vgpr10
	s_and_saveexec_b64 s[4:5], vcc
	s_xor_b64 s[4:5], exec, s[4:5]
	s_cbranch_execz .LBB49_159
; %bb.154:
	v_cmp_lt_i64_e32 vcc, 22, v[0:1]
	s_and_saveexec_b64 s[16:17], vcc
	s_xor_b64 s[16:17], exec, s[16:17]
	s_cbranch_execz .LBB49_156
; %bb.155:
	v_mov_b32_e32 v2, 0
	global_store_short v2, v30, s[6:7]
                                        ; implicit-def: $vgpr29
.LBB49_156:
	s_or_saveexec_b64 s[16:17], s[16:17]
	s_mov_b64 s[18:19], 0
	s_xor_b64 exec, exec, s[16:17]
; %bb.157:
	s_mov_b64 s[18:19], exec
; %bb.158:
	s_or_b64 exec, exec, s[16:17]
	s_and_b64 s[16:17], s[18:19], exec
	v_mov_b32_e32 v10, v29
                                        ; implicit-def: $vgpr11
.LBB49_159:
	s_andn2_saveexec_b64 s[4:5], s[4:5]
; %bb.160:
	s_mov_b64 s[8:9], exec
                                        ; implicit-def: $vgpr10
; %bb.161:
	s_or_b64 exec, exec, s[4:5]
	s_and_b64 s[4:5], s[16:17], exec
	s_and_b64 s[8:9], s[8:9], exec
                                        ; implicit-def: $vgpr27
                                        ; implicit-def: $vgpr12
                                        ; implicit-def: $vgpr24
.LBB49_162:
	s_andn2_saveexec_b64 s[14:15], s[14:15]
	s_cbranch_execz .LBB49_172
; %bb.163:
	v_cmp_lt_i64_e32 vcc, 18, v[0:1]
	s_mov_b64 s[16:17], 0
	s_and_saveexec_b64 s[10:11], vcc
	s_xor_b64 s[10:11], exec, s[10:11]
	s_cbranch_execz .LBB49_169
; %bb.164:
	v_cmp_lt_i64_e32 vcc, 19, v[0:1]
	s_and_saveexec_b64 s[18:19], vcc
	s_xor_b64 s[18:19], exec, s[18:19]
; %bb.165:
	s_mov_b64 s[16:17], exec
                                        ; implicit-def: $vgpr24
; %bb.166:
	s_andn2_saveexec_b64 s[18:19], s[18:19]
	s_cbranch_execz .LBB49_168
; %bb.167:
	v_mov_b32_e32 v2, 0
	global_store_short v2, v24, s[6:7]
                                        ; implicit-def: $vgpr12
.LBB49_168:
	s_or_b64 exec, exec, s[18:19]
	s_and_b64 s[16:17], s[16:17], exec
                                        ; implicit-def: $vgpr27
.LBB49_169:
	s_andn2_saveexec_b64 s[10:11], s[10:11]
	s_cbranch_execz .LBB49_171
; %bb.170:
	v_mov_b32_e32 v2, 0
	global_store_short v2, v27, s[6:7]
                                        ; implicit-def: $vgpr12
.LBB49_171:
	s_or_b64 exec, exec, s[10:11]
	s_and_b64 s[10:11], s[16:17], exec
                                        ; implicit-def: $vgpr10
                                        ; implicit-def: $vgpr11
.LBB49_172:
	s_or_b64 exec, exec, s[14:15]
	s_and_b64 s[4:5], s[4:5], exec
	s_and_b64 s[8:9], s[8:9], exec
	;; [unrolled: 1-line block ×3, first 2 shown]
                                        ; implicit-def: $vgpr20
                                        ; implicit-def: $vgpr13
                                        ; implicit-def: $vgpr16
                                        ; implicit-def: $vgpr25
                                        ; implicit-def: $vgpr28
.LBB49_173:
	s_andn2_saveexec_b64 s[12:13], s[12:13]
	s_cbranch_execz .LBB49_195
; %bb.174:
	v_cmp_lt_i64_e32 vcc, 14, v[0:1]
	s_mov_b64 s[14:15], s[4:5]
	s_and_saveexec_b64 s[16:17], vcc
	s_xor_b64 s[16:17], exec, s[16:17]
	s_cbranch_execz .LBB49_184
; %bb.175:
	v_cmp_lt_i64_e32 vcc, 15, v[0:1]
	s_and_saveexec_b64 s[14:15], vcc
	s_xor_b64 s[14:15], exec, s[14:15]
	s_cbranch_execz .LBB49_181
; %bb.176:
	v_cmp_lt_i64_e32 vcc, 16, v[0:1]
	s_and_saveexec_b64 s[18:19], vcc
	s_xor_b64 s[18:19], exec, s[18:19]
	s_cbranch_execz .LBB49_178
; %bb.177:
	v_mov_b32_e32 v2, 0
	global_store_short v2, v28, s[6:7]
                                        ; implicit-def: $vgpr25
.LBB49_178:
	s_andn2_saveexec_b64 s[18:19], s[18:19]
	s_cbranch_execz .LBB49_180
; %bb.179:
	v_mov_b32_e32 v2, 0
	global_store_short v2, v25, s[6:7]
.LBB49_180:
	s_or_b64 exec, exec, s[18:19]
                                        ; implicit-def: $vgpr10
.LBB49_181:
	s_or_saveexec_b64 s[14:15], s[14:15]
	s_mov_b64 s[18:19], s[4:5]
	s_xor_b64 exec, exec, s[14:15]
; %bb.182:
	s_or_b64 s[18:19], s[4:5], exec
; %bb.183:
	s_or_b64 exec, exec, s[14:15]
	s_andn2_b64 s[14:15], s[4:5], exec
	s_and_b64 s[18:19], s[18:19], exec
	s_or_b64 s[14:15], s[14:15], s[18:19]
                                        ; implicit-def: $vgpr20
                                        ; implicit-def: $vgpr13
                                        ; implicit-def: $vgpr16
.LBB49_184:
	s_or_saveexec_b64 s[16:17], s[16:17]
	s_mov_b64 s[18:19], s[8:9]
                                        ; implicit-def: $vgpr11
	s_xor_b64 exec, exec, s[16:17]
	s_cbranch_execz .LBB49_194
; %bb.185:
	v_cmp_lt_i64_e32 vcc, 12, v[0:1]
	s_mov_b64 s[20:21], s[8:9]
	s_mov_b64 s[22:23], s[14:15]
                                        ; implicit-def: $vgpr10
                                        ; implicit-def: $vgpr11
	s_and_saveexec_b64 s[18:19], vcc
	s_xor_b64 s[18:19], exec, s[18:19]
	s_cbranch_execz .LBB49_191
; %bb.186:
	v_cmp_lt_i64_e32 vcc, 13, v[0:1]
	s_mov_b64 s[20:21], s[14:15]
	s_and_saveexec_b64 s[22:23], vcc
	s_xor_b64 s[22:23], exec, s[22:23]
; %bb.187:
	s_or_b64 s[20:21], s[14:15], exec
                                        ; implicit-def: $vgpr13
; %bb.188:
	s_or_saveexec_b64 s[22:23], s[22:23]
	s_mov_b64 s[24:25], s[8:9]
	s_xor_b64 exec, exec, s[22:23]
; %bb.189:
	s_or_b64 s[24:25], s[8:9], exec
                                        ; implicit-def: $vgpr16
; %bb.190:
	s_or_b64 exec, exec, s[22:23]
	s_andn2_b64 s[22:23], s[14:15], exec
	s_and_b64 s[20:21], s[20:21], exec
	s_or_b64 s[22:23], s[22:23], s[20:21]
	s_andn2_b64 s[20:21], s[8:9], exec
	s_and_b64 s[24:25], s[24:25], exec
	s_or_b64 s[20:21], s[20:21], s[24:25]
	v_mov_b32_e32 v10, v16
	v_mov_b32_e32 v11, v13
                                        ; implicit-def: $vgpr20
.LBB49_191:
	s_andn2_saveexec_b64 s[18:19], s[18:19]
; %bb.192:
	s_or_b64 s[20:21], s[20:21], exec
                                        ; implicit-def: $vgpr10
	v_mov_b32_e32 v11, v20
; %bb.193:
	s_or_b64 exec, exec, s[18:19]
	s_andn2_b64 s[14:15], s[14:15], exec
	s_and_b64 s[18:19], s[22:23], exec
	s_or_b64 s[14:15], s[14:15], s[18:19]
	s_andn2_b64 s[18:19], s[8:9], exec
	s_and_b64 s[20:21], s[20:21], exec
	s_or_b64 s[18:19], s[18:19], s[20:21]
.LBB49_194:
	s_or_b64 exec, exec, s[16:17]
	s_andn2_b64 s[4:5], s[4:5], exec
	s_and_b64 s[14:15], s[14:15], exec
	s_or_b64 s[4:5], s[4:5], s[14:15]
	s_andn2_b64 s[8:9], s[8:9], exec
	s_and_b64 s[14:15], s[18:19], exec
	s_or_b64 s[8:9], s[8:9], s[14:15]
                                        ; implicit-def: $vgpr12
.LBB49_195:
	s_or_b64 exec, exec, s[12:13]
	s_and_b64 s[4:5], s[4:5], exec
	s_and_b64 s[8:9], s[8:9], exec
	;; [unrolled: 1-line block ×3, first 2 shown]
                                        ; implicit-def: $vgpr19
                                        ; implicit-def: $vgpr17
                                        ; implicit-def: $vgpr18
                                        ; implicit-def: $vgpr26
                                        ; implicit-def: $vgpr23
                                        ; implicit-def: $vgpr21
	s_andn2_saveexec_b64 s[2:3], s[2:3]
	s_cbranch_execz .LBB49_146
.LBB49_196:
	v_cmp_lt_i64_e32 vcc, 5, v[0:1]
	s_mov_b64 s[14:15], -1
	s_mov_b64 s[12:13], s[10:11]
	s_mov_b64 s[16:17], s[8:9]
	;; [unrolled: 1-line block ×3, first 2 shown]
                                        ; implicit-def: $vgpr10
                                        ; implicit-def: $vgpr11
                                        ; implicit-def: $vgpr12
	s_and_saveexec_b64 s[0:1], vcc
	s_cbranch_execz .LBB49_212
; %bb.197:
	v_cmp_lt_i64_e32 vcc, 8, v[0:1]
	s_mov_b64 s[12:13], s[10:11]
                                        ; implicit-def: $vgpr12
	s_and_saveexec_b64 s[14:15], vcc
	s_xor_b64 s[14:15], exec, s[14:15]
	s_cbranch_execz .LBB49_207
; %bb.198:
	v_cmp_lt_i64_e32 vcc, 9, v[0:1]
	s_and_saveexec_b64 s[12:13], vcc
	s_xor_b64 s[12:13], exec, s[12:13]
	s_cbranch_execz .LBB49_204
; %bb.199:
	v_cmp_lt_i64_e32 vcc, 10, v[0:1]
	s_and_saveexec_b64 s[16:17], vcc
	s_xor_b64 s[16:17], exec, s[16:17]
; %bb.200:
                                        ; implicit-def: $vgpr23
; %bb.201:
	s_andn2_saveexec_b64 s[16:17], s[16:17]
; %bb.202:
	v_mov_b32_e32 v21, v23
; %bb.203:
	s_or_b64 exec, exec, s[16:17]
                                        ; implicit-def: $vgpr26
.LBB49_204:
	s_andn2_saveexec_b64 s[12:13], s[12:13]
; %bb.205:
	v_mov_b32_e32 v21, v26
; %bb.206:
	s_or_b64 exec, exec, s[12:13]
	s_or_b64 s[12:13], s[10:11], exec
	v_mov_b32_e32 v12, v21
                                        ; implicit-def: $vgpr19
                                        ; implicit-def: $vgpr17
                                        ; implicit-def: $vgpr18
.LBB49_207:
	s_or_saveexec_b64 s[14:15], s[14:15]
	s_mov_b64 s[16:17], s[8:9]
	s_mov_b64 s[20:21], s[4:5]
                                        ; implicit-def: $vgpr10
                                        ; implicit-def: $vgpr11
	s_xor_b64 exec, exec, s[14:15]
	s_cbranch_execz .LBB49_211
; %bb.208:
	v_cmp_lt_i64_e32 vcc, 6, v[0:1]
	s_mov_b64 s[20:21], -1
	s_mov_b64 s[18:19], s[12:13]
	s_mov_b64 s[16:17], s[8:9]
	s_and_saveexec_b64 s[22:23], vcc
; %bb.209:
	v_cmp_lt_i64_e32 vcc, 7, v[0:1]
	s_andn2_b64 s[18:19], s[12:13], exec
	s_and_b64 s[24:25], vcc, exec
	s_xor_b64 s[20:21], exec, -1
	s_or_b64 s[16:17], s[8:9], exec
	s_or_b64 s[18:19], s[18:19], s[24:25]
                                        ; implicit-def: $vgpr19
; %bb.210:
	s_or_b64 exec, exec, s[22:23]
	s_andn2_b64 s[22:23], s[4:5], exec
	s_and_b64 s[20:21], s[20:21], exec
	s_or_b64 s[20:21], s[22:23], s[20:21]
	s_andn2_b64 s[22:23], s[8:9], exec
	s_and_b64 s[16:17], s[16:17], exec
	s_andn2_b64 s[12:13], s[12:13], exec
	s_and_b64 s[18:19], s[18:19], exec
	s_or_b64 s[16:17], s[22:23], s[16:17]
	s_or_b64 s[12:13], s[12:13], s[18:19]
	v_mov_b32_e32 v10, v19
	v_mov_b32_e32 v11, v17
	;; [unrolled: 1-line block ×3, first 2 shown]
.LBB49_211:
	s_or_b64 exec, exec, s[14:15]
	s_andn2_b64 s[18:19], s[4:5], exec
	s_and_b64 s[20:21], s[20:21], exec
	s_or_b64 s[18:19], s[18:19], s[20:21]
	s_andn2_b64 s[20:21], s[8:9], exec
	s_and_b64 s[16:17], s[16:17], exec
	s_or_b64 s[16:17], s[20:21], s[16:17]
	s_andn2_b64 s[20:21], s[10:11], exec
	s_and_b64 s[12:13], s[12:13], exec
	s_xor_b64 s[14:15], exec, -1
	s_or_b64 s[12:13], s[20:21], s[12:13]
.LBB49_212:
	s_or_b64 exec, exec, s[0:1]
	s_and_b64 s[0:1], s[14:15], exec
	s_andn2_b64 s[4:5], s[4:5], exec
	s_and_b64 s[14:15], s[18:19], exec
	s_or_b64 s[4:5], s[4:5], s[14:15]
	s_andn2_b64 s[8:9], s[8:9], exec
	s_and_b64 s[14:15], s[16:17], exec
	s_andn2_b64 s[10:11], s[10:11], exec
	s_and_b64 s[12:13], s[12:13], exec
	s_or_b64 s[8:9], s[8:9], s[14:15]
	s_or_b64 s[10:11], s[10:11], s[12:13]
	s_or_b64 exec, exec, s[2:3]
	s_and_saveexec_b64 s[2:3], s[10:11]
	s_cbranch_execz .LBB49_147
.LBB49_213:
	v_mov_b32_e32 v2, 0
	s_andn2_b64 s[8:9], s[8:9], exec
	global_store_short v2, v12, s[6:7]
                                        ; implicit-def: $vgpr10
                                        ; implicit-def: $vgpr11
	s_or_b64 exec, exec, s[2:3]
	s_and_saveexec_b64 s[2:3], s[8:9]
	s_cbranch_execz .LBB49_148
.LBB49_214:
	v_mov_b32_e32 v2, 0
	global_store_short v2, v11, s[6:7]
                                        ; implicit-def: $vgpr10
	s_or_b64 exec, exec, s[2:3]
	s_and_saveexec_b64 s[2:3], s[4:5]
	s_xor_b64 s[2:3], exec, s[2:3]
	s_cbranch_execz .LBB49_149
.LBB49_215:
	v_mov_b32_e32 v2, 0
	global_store_short v2, v10, s[6:7]
	s_or_b64 exec, exec, s[2:3]
	s_and_b64 exec, exec, s[0:1]
	s_cbranch_execz .LBB49_150
.LBB49_216:
	v_cmp_lt_i64_e32 vcc, 2, v[0:1]
	s_and_saveexec_b64 s[0:1], vcc
	s_xor_b64 s[0:1], exec, s[0:1]
	s_cbranch_execz .LBB49_226
; %bb.217:
	v_cmp_lt_i64_e32 vcc, 3, v[0:1]
	s_and_saveexec_b64 s[2:3], vcc
	s_xor_b64 s[2:3], exec, s[2:3]
	s_cbranch_execz .LBB49_223
; %bb.218:
	;; [unrolled: 5-line block ×3, first 2 shown]
	v_mov_b32_e32 v0, 0
	global_store_short v0, v9, s[6:7]
                                        ; implicit-def: $vgpr6
.LBB49_220:
	s_andn2_saveexec_b64 s[4:5], s[4:5]
	s_cbranch_execz .LBB49_222
; %bb.221:
	v_mov_b32_e32 v0, 0
	global_store_short v0, v6, s[6:7]
.LBB49_222:
	s_or_b64 exec, exec, s[4:5]
                                        ; implicit-def: $vgpr8
.LBB49_223:
	s_andn2_saveexec_b64 s[2:3], s[2:3]
	s_cbranch_execz .LBB49_225
; %bb.224:
	v_mov_b32_e32 v0, 0
	global_store_short v0, v8, s[6:7]
.LBB49_225:
	s_or_b64 exec, exec, s[2:3]
                                        ; implicit-def: $vgpr0_vgpr1
                                        ; implicit-def: $vgpr7
                                        ; implicit-def: $vgpr4
                                        ; implicit-def: $vgpr5
.LBB49_226:
	s_andn2_saveexec_b64 s[0:1], s[0:1]
	s_cbranch_execz .LBB49_150
; %bb.227:
	v_cmp_lt_i64_e32 vcc, 1, v[0:1]
	s_and_saveexec_b64 s[0:1], vcc
	s_xor_b64 s[0:1], exec, s[0:1]
	s_cbranch_execz .LBB49_229
; %bb.228:
	v_mov_b32_e32 v0, 0
	global_store_short v0, v7, s[6:7]
                                        ; implicit-def: $vgpr4
                                        ; implicit-def: $vgpr0_vgpr1
                                        ; implicit-def: $vgpr5
.LBB49_229:
	s_andn2_saveexec_b64 s[0:1], s[0:1]
	s_cbranch_execz .LBB49_150
; %bb.230:
	v_cmp_ne_u64_e32 vcc, 1, v[0:1]
	s_and_saveexec_b64 s[0:1], vcc
	s_xor_b64 s[0:1], exec, s[0:1]
	s_cbranch_execz .LBB49_232
; %bb.231:
	v_mov_b32_e32 v0, 0
	global_store_short v0, v5, s[6:7]
                                        ; implicit-def: $vgpr4
.LBB49_232:
	s_andn2_saveexec_b64 s[0:1], s[0:1]
	s_cbranch_execz .LBB49_150
; %bb.233:
	v_mov_b32_e32 v0, 0
	global_store_short v0, v4, s[6:7]
	s_endpgm
	.section	.rodata,"a",@progbits
	.p2align	6, 0x0
	.amdhsa_kernel _ZN7rocprim17ROCPRIM_304000_NS6detail20lookback_scan_kernelILNS1_25lookback_scan_determinismE0ELb0ENS1_19wrapped_scan_configINS0_14default_configEsEEPKsPsSt4plusIsEssNS1_19lookback_scan_stateIsLb0ELb1EEEEEvT2_T3_mT5_T4_T7_jPT6_SK_bb
		.amdhsa_group_segment_fixed_size 12288
		.amdhsa_private_segment_fixed_size 0
		.amdhsa_kernarg_size 68
		.amdhsa_user_sgpr_count 2
		.amdhsa_user_sgpr_dispatch_ptr 0
		.amdhsa_user_sgpr_queue_ptr 0
		.amdhsa_user_sgpr_kernarg_segment_ptr 1
		.amdhsa_user_sgpr_dispatch_id 0
		.amdhsa_user_sgpr_kernarg_preload_length 0
		.amdhsa_user_sgpr_kernarg_preload_offset 0
		.amdhsa_user_sgpr_private_segment_size 0
		.amdhsa_uses_dynamic_stack 0
		.amdhsa_enable_private_segment 0
		.amdhsa_system_sgpr_workgroup_id_x 1
		.amdhsa_system_sgpr_workgroup_id_y 0
		.amdhsa_system_sgpr_workgroup_id_z 0
		.amdhsa_system_sgpr_workgroup_info 0
		.amdhsa_system_vgpr_workitem_id 0
		.amdhsa_next_free_vgpr 55
		.amdhsa_next_free_sgpr 26
		.amdhsa_accum_offset 56
		.amdhsa_reserve_vcc 1
		.amdhsa_float_round_mode_32 0
		.amdhsa_float_round_mode_16_64 0
		.amdhsa_float_denorm_mode_32 3
		.amdhsa_float_denorm_mode_16_64 3
		.amdhsa_dx10_clamp 1
		.amdhsa_ieee_mode 1
		.amdhsa_fp16_overflow 0
		.amdhsa_tg_split 0
		.amdhsa_exception_fp_ieee_invalid_op 0
		.amdhsa_exception_fp_denorm_src 0
		.amdhsa_exception_fp_ieee_div_zero 0
		.amdhsa_exception_fp_ieee_overflow 0
		.amdhsa_exception_fp_ieee_underflow 0
		.amdhsa_exception_fp_ieee_inexact 0
		.amdhsa_exception_int_div_zero 0
	.end_amdhsa_kernel
	.section	.text._ZN7rocprim17ROCPRIM_304000_NS6detail20lookback_scan_kernelILNS1_25lookback_scan_determinismE0ELb0ENS1_19wrapped_scan_configINS0_14default_configEsEEPKsPsSt4plusIsEssNS1_19lookback_scan_stateIsLb0ELb1EEEEEvT2_T3_mT5_T4_T7_jPT6_SK_bb,"axG",@progbits,_ZN7rocprim17ROCPRIM_304000_NS6detail20lookback_scan_kernelILNS1_25lookback_scan_determinismE0ELb0ENS1_19wrapped_scan_configINS0_14default_configEsEEPKsPsSt4plusIsEssNS1_19lookback_scan_stateIsLb0ELb1EEEEEvT2_T3_mT5_T4_T7_jPT6_SK_bb,comdat
.Lfunc_end49:
	.size	_ZN7rocprim17ROCPRIM_304000_NS6detail20lookback_scan_kernelILNS1_25lookback_scan_determinismE0ELb0ENS1_19wrapped_scan_configINS0_14default_configEsEEPKsPsSt4plusIsEssNS1_19lookback_scan_stateIsLb0ELb1EEEEEvT2_T3_mT5_T4_T7_jPT6_SK_bb, .Lfunc_end49-_ZN7rocprim17ROCPRIM_304000_NS6detail20lookback_scan_kernelILNS1_25lookback_scan_determinismE0ELb0ENS1_19wrapped_scan_configINS0_14default_configEsEEPKsPsSt4plusIsEssNS1_19lookback_scan_stateIsLb0ELb1EEEEEvT2_T3_mT5_T4_T7_jPT6_SK_bb
                                        ; -- End function
	.section	.AMDGPU.csdata,"",@progbits
; Kernel info:
; codeLenInByte = 8476
; NumSgprs: 32
; NumVgprs: 55
; NumAgprs: 0
; TotalNumVgprs: 55
; ScratchSize: 0
; MemoryBound: 0
; FloatMode: 240
; IeeeMode: 1
; LDSByteSize: 12288 bytes/workgroup (compile time only)
; SGPRBlocks: 3
; VGPRBlocks: 6
; NumSGPRsForWavesPerEU: 32
; NumVGPRsForWavesPerEU: 55
; AccumOffset: 56
; Occupancy: 5
; WaveLimiterHint : 1
; COMPUTE_PGM_RSRC2:SCRATCH_EN: 0
; COMPUTE_PGM_RSRC2:USER_SGPR: 2
; COMPUTE_PGM_RSRC2:TRAP_HANDLER: 0
; COMPUTE_PGM_RSRC2:TGID_X_EN: 1
; COMPUTE_PGM_RSRC2:TGID_Y_EN: 0
; COMPUTE_PGM_RSRC2:TGID_Z_EN: 0
; COMPUTE_PGM_RSRC2:TIDIG_COMP_CNT: 0
; COMPUTE_PGM_RSRC3_GFX90A:ACCUM_OFFSET: 13
; COMPUTE_PGM_RSRC3_GFX90A:TG_SPLIT: 0
	.section	.text._ZN7rocprim17ROCPRIM_304000_NS6detail16transform_kernelINS1_24wrapped_transform_configINS0_14default_configEsEEsPsS6_NS0_8identityIsEEEEvT1_mT2_T3_,"axG",@progbits,_ZN7rocprim17ROCPRIM_304000_NS6detail16transform_kernelINS1_24wrapped_transform_configINS0_14default_configEsEEsPsS6_NS0_8identityIsEEEEvT1_mT2_T3_,comdat
	.protected	_ZN7rocprim17ROCPRIM_304000_NS6detail16transform_kernelINS1_24wrapped_transform_configINS0_14default_configEsEEsPsS6_NS0_8identityIsEEEEvT1_mT2_T3_ ; -- Begin function _ZN7rocprim17ROCPRIM_304000_NS6detail16transform_kernelINS1_24wrapped_transform_configINS0_14default_configEsEEsPsS6_NS0_8identityIsEEEEvT1_mT2_T3_
	.globl	_ZN7rocprim17ROCPRIM_304000_NS6detail16transform_kernelINS1_24wrapped_transform_configINS0_14default_configEsEEsPsS6_NS0_8identityIsEEEEvT1_mT2_T3_
	.p2align	8
	.type	_ZN7rocprim17ROCPRIM_304000_NS6detail16transform_kernelINS1_24wrapped_transform_configINS0_14default_configEsEEsPsS6_NS0_8identityIsEEEEvT1_mT2_T3_,@function
_ZN7rocprim17ROCPRIM_304000_NS6detail16transform_kernelINS1_24wrapped_transform_configINS0_14default_configEsEEsPsS6_NS0_8identityIsEEEEvT1_mT2_T3_: ; @_ZN7rocprim17ROCPRIM_304000_NS6detail16transform_kernelINS1_24wrapped_transform_configINS0_14default_configEsEEsPsS6_NS0_8identityIsEEEEvT1_mT2_T3_
; %bb.0:
	s_load_dword s3, s[0:1], 0x20
	s_load_dwordx4 s[4:7], s[0:1], 0x0
	s_load_dwordx2 s[14:15], s[0:1], 0x10
	s_lshl_b32 s0, s2, 11
	s_mov_b32 s1, 0
	s_waitcnt lgkmcnt(0)
	s_add_i32 s3, s3, -1
	s_lshl_b64 s[16:17], s[0:1], 1
	s_add_u32 s4, s4, s16
	s_addc_u32 s5, s5, s17
	v_mov_b32_e32 v7, 0
	v_lshlrev_b32_e32 v6, 1, v0
	s_cmp_lg_u32 s2, s3
	v_lshl_add_u64 v[8:9], s[4:5], 0, v[6:7]
	s_cbranch_scc0 .LBB50_2
; %bb.1:
	global_load_ushort v2, v[8:9], off
	global_load_ushort v3, v[8:9], off offset:512
	global_load_ushort v4, v[8:9], off offset:1024
	;; [unrolled: 1-line block ×7, first 2 shown]
	s_add_u32 s4, s14, s16
	s_addc_u32 s5, s15, s17
	s_mov_b64 s[18:19], -1
	s_waitcnt vmcnt(7)
	global_store_short v6, v2, s[4:5]
	s_waitcnt vmcnt(7)
	global_store_short v6, v3, s[4:5] offset:512
	s_waitcnt vmcnt(7)
	global_store_short v6, v4, s[4:5] offset:1024
	;; [unrolled: 2-line block ×6, first 2 shown]
	s_cbranch_execz .LBB50_3
	s_branch .LBB50_32
.LBB50_2:
	s_mov_b64 s[18:19], 0
                                        ; implicit-def: $vgpr1
.LBB50_3:
	s_sub_i32 s20, s6, s0
	v_cmp_gt_u32_e32 vcc, s20, v0
                                        ; implicit-def: $vgpr2_vgpr3_vgpr4_vgpr5
	s_and_saveexec_b64 s[0:1], vcc
	s_cbranch_execz .LBB50_5
; %bb.4:
	global_load_ushort v2, v[8:9], off
.LBB50_5:
	s_or_b64 exec, exec, s[0:1]
	s_waitcnt vmcnt(7)
	v_or_b32_e32 v1, 0x100, v0
	v_cmp_gt_u32_e64 s[0:1], s20, v1
	s_and_saveexec_b64 s[2:3], s[0:1]
	s_cbranch_execz .LBB50_7
; %bb.6:
	global_load_ushort v1, v[8:9], off offset:512
	s_mov_b32 s4, 0x5040100
	s_waitcnt vmcnt(0)
	v_perm_b32 v2, v1, v2, s4
.LBB50_7:
	s_or_b64 exec, exec, s[2:3]
	v_or_b32_e32 v1, 0x200, v0
	v_cmp_gt_u32_e64 s[2:3], s20, v1
	s_and_saveexec_b64 s[4:5], s[2:3]
	s_cbranch_execz .LBB50_9
; %bb.8:
	global_load_ushort v1, v[8:9], off offset:1024
	s_mov_b32 s6, 0xffff
	s_waitcnt vmcnt(0)
	v_bfi_b32 v3, s6, v1, v3
.LBB50_9:
	s_or_b64 exec, exec, s[4:5]
	v_or_b32_e32 v1, 0x300, v0
	v_cmp_gt_u32_e64 s[4:5], s20, v1
	s_and_saveexec_b64 s[6:7], s[4:5]
	s_cbranch_execz .LBB50_11
; %bb.10:
	global_load_ushort v1, v[8:9], off offset:1536
	s_mov_b32 s8, 0x5040100
	s_waitcnt vmcnt(0)
	v_perm_b32 v3, v1, v3, s8
.LBB50_11:
	s_or_b64 exec, exec, s[6:7]
	v_or_b32_e32 v1, 0x400, v0
	v_cmp_gt_u32_e64 s[6:7], s20, v1
	s_and_saveexec_b64 s[8:9], s[6:7]
	s_cbranch_execz .LBB50_13
; %bb.12:
	global_load_ushort v1, v[8:9], off offset:2048
	s_mov_b32 s10, 0xffff
	s_waitcnt vmcnt(0)
	v_bfi_b32 v4, s10, v1, v4
.LBB50_13:
	s_or_b64 exec, exec, s[8:9]
	;; [unrolled: 22-line block ×3, first 2 shown]
	v_or_b32_e32 v0, 0x700, v0
	v_cmp_gt_u32_e64 s[12:13], s20, v0
	s_and_saveexec_b64 s[20:21], s[12:13]
	s_cbranch_execz .LBB50_19
; %bb.18:
	global_load_ushort v0, v[8:9], off offset:3584
	s_mov_b32 s22, 0x5040100
	s_waitcnt vmcnt(0)
	v_perm_b32 v5, v0, v5, s22
.LBB50_19:
	s_or_b64 exec, exec, s[20:21]
	s_add_u32 s20, s14, s16
	s_addc_u32 s21, s15, s17
	v_mov_b32_e32 v7, 0
	v_lshl_add_u64 v[0:1], s[20:21], 0, v[6:7]
	s_and_saveexec_b64 s[20:21], vcc
	s_cbranch_execnz .LBB50_35
; %bb.20:
	s_or_b64 exec, exec, s[20:21]
	s_and_saveexec_b64 s[20:21], s[0:1]
	s_cbranch_execnz .LBB50_36
.LBB50_21:
	s_or_b64 exec, exec, s[20:21]
	s_mov_b32 s20, 0xffff
	s_and_saveexec_b64 s[0:1], s[2:3]
	s_cbranch_execz .LBB50_23
.LBB50_22:
	global_store_short v[0:1], v3, off offset:1024
.LBB50_23:
	s_or_b64 exec, exec, s[0:1]
	s_waitcnt vmcnt(0)
	v_bfi_b32 v2, s20, v3, v3
	v_cndmask_b32_e64 v2, v2, v3, s[4:5]
	s_and_saveexec_b64 s[0:1], s[4:5]
	s_cbranch_execz .LBB50_25
; %bb.24:
	global_store_short_d16_hi v[0:1], v2, off offset:1536
.LBB50_25:
	s_or_b64 exec, exec, s[0:1]
	s_mov_b32 s2, 0xffff
	v_cndmask_b32_e64 v2, v4, v4, s[6:7]
	s_and_saveexec_b64 s[0:1], s[6:7]
	s_cbranch_execz .LBB50_27
; %bb.26:
	global_store_short v[0:1], v2, off offset:2048
.LBB50_27:
	s_or_b64 exec, exec, s[0:1]
	v_bfi_b32 v2, s2, v2, v4
	v_cndmask_b32_e64 v2, v2, v4, s[8:9]
	s_and_saveexec_b64 s[0:1], s[8:9]
	s_cbranch_execnz .LBB50_37
; %bb.28:
	s_or_b64 exec, exec, s[0:1]
	s_and_saveexec_b64 s[0:1], s[10:11]
	s_cbranch_execnz .LBB50_38
.LBB50_29:
	s_or_b64 exec, exec, s[0:1]
                                        ; implicit-def: $vgpr1
	s_and_saveexec_b64 s[0:1], s[12:13]
.LBB50_30:
	v_cndmask_b32_e64 v0, v5, v5, s[12:13]
	v_lshrrev_b32_e32 v1, 16, v0
	s_or_b64 s[18:19], s[18:19], exec
.LBB50_31:
	s_or_b64 exec, exec, s[0:1]
.LBB50_32:
	s_and_saveexec_b64 s[0:1], s[18:19]
	s_cbranch_execnz .LBB50_34
; %bb.33:
	s_endpgm
.LBB50_34:
	s_add_u32 s0, s14, s16
	s_addc_u32 s1, s15, s17
	s_waitcnt vmcnt(7)
	global_store_short v6, v1, s[0:1] offset:3584
	s_endpgm
.LBB50_35:
	s_waitcnt vmcnt(0)
	global_store_short v[0:1], v2, off
	s_or_b64 exec, exec, s[20:21]
	s_and_saveexec_b64 s[20:21], s[0:1]
	s_cbranch_execz .LBB50_21
.LBB50_36:
	s_waitcnt vmcnt(0)
	global_store_short_d16_hi v[0:1], v2, off offset:512
	s_or_b64 exec, exec, s[20:21]
	s_mov_b32 s20, 0xffff
	s_and_saveexec_b64 s[0:1], s[2:3]
	s_cbranch_execnz .LBB50_22
	s_branch .LBB50_23
.LBB50_37:
	global_store_short_d16_hi v[0:1], v2, off offset:2560
	s_or_b64 exec, exec, s[0:1]
	s_and_saveexec_b64 s[0:1], s[10:11]
	s_cbranch_execz .LBB50_29
.LBB50_38:
	v_cndmask_b32_e64 v2, v5, v5, s[10:11]
	global_store_short v[0:1], v2, off offset:3072
	s_or_b64 exec, exec, s[0:1]
                                        ; implicit-def: $vgpr1
	s_and_saveexec_b64 s[0:1], s[12:13]
	s_cbranch_execnz .LBB50_30
	s_branch .LBB50_31
	.section	.rodata,"a",@progbits
	.p2align	6, 0x0
	.amdhsa_kernel _ZN7rocprim17ROCPRIM_304000_NS6detail16transform_kernelINS1_24wrapped_transform_configINS0_14default_configEsEEsPsS6_NS0_8identityIsEEEEvT1_mT2_T3_
		.amdhsa_group_segment_fixed_size 0
		.amdhsa_private_segment_fixed_size 0
		.amdhsa_kernarg_size 288
		.amdhsa_user_sgpr_count 2
		.amdhsa_user_sgpr_dispatch_ptr 0
		.amdhsa_user_sgpr_queue_ptr 0
		.amdhsa_user_sgpr_kernarg_segment_ptr 1
		.amdhsa_user_sgpr_dispatch_id 0
		.amdhsa_user_sgpr_kernarg_preload_length 0
		.amdhsa_user_sgpr_kernarg_preload_offset 0
		.amdhsa_user_sgpr_private_segment_size 0
		.amdhsa_uses_dynamic_stack 0
		.amdhsa_enable_private_segment 0
		.amdhsa_system_sgpr_workgroup_id_x 1
		.amdhsa_system_sgpr_workgroup_id_y 0
		.amdhsa_system_sgpr_workgroup_id_z 0
		.amdhsa_system_sgpr_workgroup_info 0
		.amdhsa_system_vgpr_workitem_id 0
		.amdhsa_next_free_vgpr 12
		.amdhsa_next_free_sgpr 23
		.amdhsa_accum_offset 12
		.amdhsa_reserve_vcc 1
		.amdhsa_float_round_mode_32 0
		.amdhsa_float_round_mode_16_64 0
		.amdhsa_float_denorm_mode_32 3
		.amdhsa_float_denorm_mode_16_64 3
		.amdhsa_dx10_clamp 1
		.amdhsa_ieee_mode 1
		.amdhsa_fp16_overflow 0
		.amdhsa_tg_split 0
		.amdhsa_exception_fp_ieee_invalid_op 0
		.amdhsa_exception_fp_denorm_src 0
		.amdhsa_exception_fp_ieee_div_zero 0
		.amdhsa_exception_fp_ieee_overflow 0
		.amdhsa_exception_fp_ieee_underflow 0
		.amdhsa_exception_fp_ieee_inexact 0
		.amdhsa_exception_int_div_zero 0
	.end_amdhsa_kernel
	.section	.text._ZN7rocprim17ROCPRIM_304000_NS6detail16transform_kernelINS1_24wrapped_transform_configINS0_14default_configEsEEsPsS6_NS0_8identityIsEEEEvT1_mT2_T3_,"axG",@progbits,_ZN7rocprim17ROCPRIM_304000_NS6detail16transform_kernelINS1_24wrapped_transform_configINS0_14default_configEsEEsPsS6_NS0_8identityIsEEEEvT1_mT2_T3_,comdat
.Lfunc_end50:
	.size	_ZN7rocprim17ROCPRIM_304000_NS6detail16transform_kernelINS1_24wrapped_transform_configINS0_14default_configEsEEsPsS6_NS0_8identityIsEEEEvT1_mT2_T3_, .Lfunc_end50-_ZN7rocprim17ROCPRIM_304000_NS6detail16transform_kernelINS1_24wrapped_transform_configINS0_14default_configEsEEsPsS6_NS0_8identityIsEEEEvT1_mT2_T3_
                                        ; -- End function
	.section	.AMDGPU.csdata,"",@progbits
; Kernel info:
; codeLenInByte = 1032
; NumSgprs: 29
; NumVgprs: 12
; NumAgprs: 0
; TotalNumVgprs: 12
; ScratchSize: 0
; MemoryBound: 0
; FloatMode: 240
; IeeeMode: 1
; LDSByteSize: 0 bytes/workgroup (compile time only)
; SGPRBlocks: 3
; VGPRBlocks: 1
; NumSGPRsForWavesPerEU: 29
; NumVGPRsForWavesPerEU: 12
; AccumOffset: 12
; Occupancy: 8
; WaveLimiterHint : 1
; COMPUTE_PGM_RSRC2:SCRATCH_EN: 0
; COMPUTE_PGM_RSRC2:USER_SGPR: 2
; COMPUTE_PGM_RSRC2:TRAP_HANDLER: 0
; COMPUTE_PGM_RSRC2:TGID_X_EN: 1
; COMPUTE_PGM_RSRC2:TGID_Y_EN: 0
; COMPUTE_PGM_RSRC2:TGID_Z_EN: 0
; COMPUTE_PGM_RSRC2:TIDIG_COMP_CNT: 0
; COMPUTE_PGM_RSRC3_GFX90A:ACCUM_OFFSET: 2
; COMPUTE_PGM_RSRC3_GFX90A:TG_SPLIT: 0
	.section	.text._ZN7rocprim17ROCPRIM_304000_NS6detail18single_scan_kernelILb0ENS1_19wrapped_scan_configINS0_14default_configEsEEPKsPsSt4plusIsEssEEvT1_mT4_T2_T3_,"axG",@progbits,_ZN7rocprim17ROCPRIM_304000_NS6detail18single_scan_kernelILb0ENS1_19wrapped_scan_configINS0_14default_configEsEEPKsPsSt4plusIsEssEEvT1_mT4_T2_T3_,comdat
	.protected	_ZN7rocprim17ROCPRIM_304000_NS6detail18single_scan_kernelILb0ENS1_19wrapped_scan_configINS0_14default_configEsEEPKsPsSt4plusIsEssEEvT1_mT4_T2_T3_ ; -- Begin function _ZN7rocprim17ROCPRIM_304000_NS6detail18single_scan_kernelILb0ENS1_19wrapped_scan_configINS0_14default_configEsEEPKsPsSt4plusIsEssEEvT1_mT4_T2_T3_
	.globl	_ZN7rocprim17ROCPRIM_304000_NS6detail18single_scan_kernelILb0ENS1_19wrapped_scan_configINS0_14default_configEsEEPKsPsSt4plusIsEssEEvT1_mT4_T2_T3_
	.p2align	8
	.type	_ZN7rocprim17ROCPRIM_304000_NS6detail18single_scan_kernelILb0ENS1_19wrapped_scan_configINS0_14default_configEsEEPKsPsSt4plusIsEssEEvT1_mT4_T2_T3_,@function
_ZN7rocprim17ROCPRIM_304000_NS6detail18single_scan_kernelILb0ENS1_19wrapped_scan_configINS0_14default_configEsEEPKsPsSt4plusIsEssEEvT1_mT4_T2_T3_: ; @_ZN7rocprim17ROCPRIM_304000_NS6detail18single_scan_kernelILb0ENS1_19wrapped_scan_configINS0_14default_configEsEEPKsPsSt4plusIsEssEEvT1_mT4_T2_T3_
; %bb.0:
	s_load_dwordx4 s[48:51], s[0:1], 0x0
	v_mov_b32_e32 v15, 0
	v_lshlrev_b32_e32 v14, 1, v0
	s_waitcnt lgkmcnt(0)
	global_load_ushort v1, v15, s[48:49]
	v_lshl_add_u64 v[2:3], s[48:49], 0, v[14:15]
	v_cmp_gt_u32_e64 s[34:35], s50, v0
	s_waitcnt vmcnt(0)
	v_mov_b32_e32 v4, v1
	s_and_saveexec_b64 s[2:3], s[34:35]
	s_cbranch_execz .LBB51_2
; %bb.1:
	global_load_ushort v4, v[2:3], off
.LBB51_2:
	s_or_b64 exec, exec, s[2:3]
	v_or_b32_e32 v5, 0x100, v0
	v_cmp_gt_u32_e64 s[2:3], s50, v5
	v_mov_b32_e32 v5, v1
	s_and_saveexec_b64 s[4:5], s[2:3]
	s_cbranch_execz .LBB51_4
; %bb.3:
	global_load_ushort v5, v[2:3], off offset:512
.LBB51_4:
	s_or_b64 exec, exec, s[4:5]
	v_or_b32_e32 v6, 0x200, v0
	v_cmp_gt_u32_e64 s[4:5], s50, v6
	v_mov_b32_e32 v6, v1
	s_and_saveexec_b64 s[6:7], s[4:5]
	s_cbranch_execz .LBB51_6
; %bb.5:
	global_load_ushort v6, v[2:3], off offset:1024
.LBB51_6:
	;; [unrolled: 9-line block ×7, first 2 shown]
	s_or_b64 exec, exec, s[16:17]
	v_or_b32_e32 v12, 0x800, v0
	v_cmp_gt_u32_e64 s[16:17], s50, v12
	v_mov_b32_e32 v12, v1
	s_and_saveexec_b64 s[18:19], s[16:17]
	s_cbranch_execz .LBB51_18
; %bb.17:
	v_add_co_u32_e32 v12, vcc, 0x1000, v2
	s_nop 1
	v_addc_co_u32_e32 v13, vcc, 0, v3, vcc
	global_load_ushort v12, v[12:13], off
.LBB51_18:
	s_or_b64 exec, exec, s[18:19]
	v_or_b32_e32 v13, 0x900, v0
	v_cmp_gt_u32_e64 s[18:19], s50, v13
	v_mov_b32_e32 v13, v1
	s_and_saveexec_b64 s[20:21], s[18:19]
	s_cbranch_execz .LBB51_20
; %bb.19:
	v_add_co_u32_e32 v16, vcc, 0x1000, v2
	s_nop 1
	v_addc_co_u32_e32 v17, vcc, 0, v3, vcc
	global_load_ushort v13, v[16:17], off offset:512
.LBB51_20:
	s_or_b64 exec, exec, s[20:21]
	v_or_b32_e32 v15, 0xa00, v0
	v_cmp_gt_u32_e64 s[20:21], s50, v15
	v_mov_b32_e32 v15, v1
	s_and_saveexec_b64 s[22:23], s[20:21]
	s_cbranch_execz .LBB51_22
; %bb.21:
	v_add_co_u32_e32 v16, vcc, 0x1000, v2
	s_nop 1
	v_addc_co_u32_e32 v17, vcc, 0, v3, vcc
	global_load_ushort v15, v[16:17], off offset:1024
.LBB51_22:
	;; [unrolled: 12-line block ×7, first 2 shown]
	s_or_b64 exec, exec, s[36:37]
	v_or_b32_e32 v21, 0x1000, v0
	v_cmp_gt_u32_e64 s[36:37], s50, v21
	v_mov_b32_e32 v21, v1
	s_and_saveexec_b64 s[38:39], s[36:37]
	s_cbranch_execz .LBB51_34
; %bb.33:
	v_add_co_u32_e32 v22, vcc, 0x2000, v2
	s_nop 1
	v_addc_co_u32_e32 v23, vcc, 0, v3, vcc
	global_load_ushort v21, v[22:23], off
.LBB51_34:
	s_or_b64 exec, exec, s[38:39]
	v_or_b32_e32 v22, 0x1100, v0
	v_cmp_gt_u32_e64 s[38:39], s50, v22
	v_mov_b32_e32 v22, v1
	s_and_saveexec_b64 s[40:41], s[38:39]
	s_cbranch_execz .LBB51_36
; %bb.35:
	v_add_co_u32_e32 v22, vcc, 0x2000, v2
	s_nop 1
	v_addc_co_u32_e32 v23, vcc, 0, v3, vcc
	global_load_ushort v22, v[22:23], off offset:512
.LBB51_36:
	s_or_b64 exec, exec, s[40:41]
	v_or_b32_e32 v23, 0x1200, v0
	v_cmp_gt_u32_e64 s[40:41], s50, v23
	v_mov_b32_e32 v23, v1
	s_and_saveexec_b64 s[42:43], s[40:41]
	s_cbranch_execz .LBB51_38
; %bb.37:
	v_add_co_u32_e32 v24, vcc, 0x2000, v2
	s_nop 1
	v_addc_co_u32_e32 v25, vcc, 0, v3, vcc
	global_load_ushort v23, v[24:25], off offset:1024
.LBB51_38:
	;; [unrolled: 12-line block ×6, first 2 shown]
	s_or_b64 exec, exec, s[52:53]
	v_or_b32_e32 v28, 0x1700, v0
	v_cmp_gt_u32_e64 s[50:51], s50, v28
	s_and_saveexec_b64 s[52:53], s[50:51]
	s_cbranch_execz .LBB51_48
; %bb.47:
	v_add_co_u32_e32 v2, vcc, 0x2000, v2
	s_nop 1
	v_addc_co_u32_e32 v3, vcc, 0, v3, vcc
	global_load_ushort v1, v[2:3], off offset:3584
.LBB51_48:
	s_or_b64 exec, exec, s[52:53]
	s_waitcnt vmcnt(0)
	ds_write_b16 v14, v4
	ds_write_b16 v14, v5 offset:512
	ds_write_b16 v14, v6 offset:1024
	;; [unrolled: 1-line block ×23, first 2 shown]
	v_mad_u32_u24 v1, v0, 46, v14
	s_waitcnt lgkmcnt(0)
	s_barrier
	ds_read_b128 v[10:13], v1
	ds_read_b128 v[6:9], v1 offset:16
	ds_read_b128 v[2:5], v1 offset:32
	s_waitcnt lgkmcnt(0)
	s_barrier
	v_add_u16_sdwa v1, v10, v10 dst_sel:DWORD dst_unused:UNUSED_PAD src0_sel:WORD_1 src1_sel:DWORD
	v_add_u16_e32 v1, v1, v11
	v_add_u16_sdwa v1, v1, v11 dst_sel:DWORD dst_unused:UNUSED_PAD src0_sel:DWORD src1_sel:WORD_1
	v_add_u16_e32 v1, v1, v12
	v_add_u16_sdwa v1, v1, v12 dst_sel:DWORD dst_unused:UNUSED_PAD src0_sel:DWORD src1_sel:WORD_1
	v_add_u16_e32 v1, v1, v13
	v_add_u16_sdwa v1, v1, v13 dst_sel:DWORD dst_unused:UNUSED_PAD src0_sel:DWORD src1_sel:WORD_1
	v_add_u16_e32 v1, v1, v6
	v_add_u16_sdwa v1, v1, v6 dst_sel:DWORD dst_unused:UNUSED_PAD src0_sel:DWORD src1_sel:WORD_1
	v_add_u16_e32 v1, v1, v7
	v_add_u16_sdwa v1, v1, v7 dst_sel:DWORD dst_unused:UNUSED_PAD src0_sel:DWORD src1_sel:WORD_1
	v_add_u16_e32 v1, v1, v8
	v_add_u16_sdwa v1, v1, v8 dst_sel:DWORD dst_unused:UNUSED_PAD src0_sel:DWORD src1_sel:WORD_1
	v_add_u16_e32 v1, v1, v9
	v_add_u16_sdwa v1, v1, v9 dst_sel:DWORD dst_unused:UNUSED_PAD src0_sel:DWORD src1_sel:WORD_1
	v_add_u16_e32 v1, v1, v2
	v_add_u16_sdwa v1, v1, v2 dst_sel:DWORD dst_unused:UNUSED_PAD src0_sel:DWORD src1_sel:WORD_1
	v_add_u16_e32 v1, v1, v3
	v_add_u16_sdwa v1, v1, v3 dst_sel:DWORD dst_unused:UNUSED_PAD src0_sel:DWORD src1_sel:WORD_1
	v_add_u16_e32 v1, v1, v4
	v_add_u16_sdwa v1, v1, v4 dst_sel:DWORD dst_unused:UNUSED_PAD src0_sel:DWORD src1_sel:WORD_1
	v_add_u16_e32 v1, v1, v5
	v_add_u16_sdwa v15, v1, v5 dst_sel:DWORD dst_unused:UNUSED_PAD src0_sel:DWORD src1_sel:WORD_1
	v_mbcnt_lo_u32_b32 v1, -1, 0
	v_mbcnt_hi_u32_b32 v1, -1, v1
	v_and_b32_e32 v16, 15, v1
	v_mov_b32_dpp v17, v15 row_shr:1 row_mask:0xf bank_mask:0xf
	v_cmp_ne_u32_e32 vcc, 0, v16
	s_nop 1
	v_cndmask_b32_e32 v17, 0, v17, vcc
	v_add_u16_e32 v15, v17, v15
	v_cmp_lt_u32_e32 vcc, 1, v16
	s_nop 0
	v_mov_b32_dpp v17, v15 row_shr:2 row_mask:0xf bank_mask:0xf
	v_cndmask_b32_e32 v17, 0, v17, vcc
	v_add_u16_e32 v15, v15, v17
	v_cmp_lt_u32_e32 vcc, 3, v16
	s_nop 0
	v_mov_b32_dpp v17, v15 row_shr:4 row_mask:0xf bank_mask:0xf
	;; [unrolled: 5-line block ×3, first 2 shown]
	v_cndmask_b32_e32 v16, 0, v17, vcc
	v_add_u16_e32 v15, v15, v16
	v_and_b32_e32 v17, 16, v1
	v_cmp_ne_u32_e32 vcc, 0, v17
	v_mov_b32_dpp v16, v15 row_bcast:15 row_mask:0xf bank_mask:0xf
	v_lshrrev_b32_e32 v17, 6, v0
	v_cndmask_b32_e32 v16, 0, v16, vcc
	v_add_u16_e32 v15, v15, v16
	v_cmp_lt_u32_e32 vcc, 31, v1
	s_nop 0
	v_mov_b32_dpp v16, v15 row_bcast:31 row_mask:0xf bank_mask:0xf
	v_cndmask_b32_e32 v16, 0, v16, vcc
	v_add_u16_e32 v16, v15, v16
	v_or_b32_e32 v15, 63, v0
	v_cmp_eq_u32_e32 vcc, v15, v0
	s_and_saveexec_b64 s[52:53], vcc
	s_cbranch_execz .LBB51_50
; %bb.49:
	v_lshlrev_b32_e32 v15, 1, v17
	ds_write_b16 v15, v16
.LBB51_50:
	s_or_b64 exec, exec, s[52:53]
	v_cmp_gt_u32_e32 vcc, 4, v0
	s_waitcnt lgkmcnt(0)
	s_barrier
	s_and_saveexec_b64 s[52:53], vcc
	s_cbranch_execz .LBB51_52
; %bb.51:
	ds_read_u16 v15, v14
	v_and_b32_e32 v18, 3, v1
	v_cmp_ne_u32_e32 vcc, 0, v18
	s_waitcnt lgkmcnt(0)
	v_and_b32_e32 v19, 0xffff, v15
	s_nop 1
	v_mov_b32_dpp v19, v19 row_shr:1 row_mask:0xf bank_mask:0xf
	v_cndmask_b32_e32 v19, 0, v19, vcc
	v_add_u16_e32 v15, v19, v15
	v_cmp_lt_u32_e32 vcc, 1, v18
	s_nop 0
	v_mov_b32_dpp v19, v15 row_shr:2 row_mask:0xf bank_mask:0xf
	v_cndmask_b32_e32 v18, 0, v19, vcc
	v_add_u16_e32 v15, v15, v18
	ds_write_b16 v14, v15
.LBB51_52:
	s_or_b64 exec, exec, s[52:53]
	v_mul_u32_u24_e32 v15, 46, v0
	v_cmp_lt_u32_e32 vcc, 63, v0
	s_waitcnt lgkmcnt(0)
	s_barrier
	s_waitcnt lgkmcnt(0)
                                        ; implicit-def: $vgpr18
	s_and_saveexec_b64 s[52:53], vcc
	s_cbranch_execz .LBB51_54
; %bb.53:
	v_lshl_add_u32 v17, v17, 1, -2
	ds_read_u16 v18, v17
	s_waitcnt lgkmcnt(0)
	v_add_u16_e32 v16, v18, v16
.LBB51_54:
	s_or_b64 exec, exec, s[52:53]
	v_add_u32_e32 v17, -1, v1
	v_and_b32_e32 v19, 64, v1
	v_cmp_lt_i32_e32 vcc, v17, v19
	v_and_b32_e32 v16, 0xffff, v16
	s_mov_b32 s33, 0x5040100
	v_cndmask_b32_e32 v17, v17, v1, vcc
	v_lshlrev_b32_e32 v17, 2, v17
	ds_bpermute_b32 v16, v17, v16
	v_cmp_eq_u32_e32 vcc, 0, v1
	v_add_u32_e32 v15, v14, v15
	s_waitcnt lgkmcnt(0)
	s_barrier
	v_cndmask_b32_e32 v1, v16, v18, vcc
	v_cmp_ne_u32_e32 vcc, 0, v0
	s_load_dwordx2 s[0:1], s[0:1], 0x18
	s_nop 0
	v_cndmask_b32_e32 v0, 0, v1, vcc
	v_add_u16_e32 v0, v0, v10
	v_add_u16_sdwa v1, v0, v10 dst_sel:DWORD dst_unused:UNUSED_PAD src0_sel:DWORD src1_sel:WORD_1
	v_add_u16_e32 v10, v1, v11
	v_add_u16_sdwa v11, v10, v11 dst_sel:DWORD dst_unused:UNUSED_PAD src0_sel:DWORD src1_sel:WORD_1
	;; [unrolled: 2-line block ×11, first 2 shown]
	v_add_u16_e32 v27, v4, v5
	v_perm_b32 v0, v1, v0, s33
	v_perm_b32 v1, v11, v10, s33
	;; [unrolled: 1-line block ×4, first 2 shown]
	v_add_u16_sdwa v5, v27, v5 dst_sel:DWORD dst_unused:UNUSED_PAD src0_sel:DWORD src1_sel:WORD_1
	ds_write_b128 v15, v[0:3]
	v_perm_b32 v0, v6, v18, s33
	v_perm_b32 v1, v7, v19, s33
	;; [unrolled: 1-line block ×4, first 2 shown]
	ds_write_b128 v15, v[0:3] offset:16
	v_perm_b32 v0, v23, v22, s33
	v_perm_b32 v1, v25, v24, s33
	;; [unrolled: 1-line block ×4, first 2 shown]
	ds_write_b128 v15, v[0:3] offset:32
	s_waitcnt lgkmcnt(0)
	s_barrier
	ds_read_u16 v26, v14 offset:512
	ds_read_u16 v25, v14 offset:1024
	;; [unrolled: 1-line block ×23, first 2 shown]
	v_mov_b32_e32 v15, 0
	v_lshl_add_u64 v[0:1], s[0:1], 0, v[14:15]
	s_and_saveexec_b64 s[0:1], s[34:35]
	s_cbranch_execnz .LBB51_79
; %bb.55:
	s_or_b64 exec, exec, s[0:1]
	s_and_saveexec_b64 s[0:1], s[2:3]
	s_cbranch_execnz .LBB51_80
.LBB51_56:
	s_or_b64 exec, exec, s[0:1]
	s_and_saveexec_b64 s[0:1], s[4:5]
	s_cbranch_execnz .LBB51_81
.LBB51_57:
	s_or_b64 exec, exec, s[0:1]
	s_and_saveexec_b64 s[0:1], s[6:7]
	s_cbranch_execnz .LBB51_82
.LBB51_58:
	s_or_b64 exec, exec, s[0:1]
	s_and_saveexec_b64 s[0:1], s[8:9]
	s_cbranch_execnz .LBB51_83
.LBB51_59:
	s_or_b64 exec, exec, s[0:1]
	s_and_saveexec_b64 s[0:1], s[10:11]
	s_cbranch_execnz .LBB51_84
.LBB51_60:
	s_or_b64 exec, exec, s[0:1]
	s_and_saveexec_b64 s[0:1], s[12:13]
	s_cbranch_execnz .LBB51_85
.LBB51_61:
	s_or_b64 exec, exec, s[0:1]
	s_and_saveexec_b64 s[0:1], s[14:15]
	s_cbranch_execnz .LBB51_86
.LBB51_62:
	s_or_b64 exec, exec, s[0:1]
	s_and_saveexec_b64 s[0:1], s[16:17]
	s_cbranch_execnz .LBB51_87
.LBB51_63:
	s_or_b64 exec, exec, s[0:1]
	s_and_saveexec_b64 s[0:1], s[18:19]
	s_cbranch_execnz .LBB51_88
.LBB51_64:
	s_or_b64 exec, exec, s[0:1]
	s_and_saveexec_b64 s[0:1], s[20:21]
	s_cbranch_execnz .LBB51_89
.LBB51_65:
	s_or_b64 exec, exec, s[0:1]
	s_and_saveexec_b64 s[0:1], s[22:23]
	s_cbranch_execnz .LBB51_90
.LBB51_66:
	s_or_b64 exec, exec, s[0:1]
	s_and_saveexec_b64 s[0:1], s[24:25]
	s_cbranch_execnz .LBB51_91
.LBB51_67:
	s_or_b64 exec, exec, s[0:1]
	s_and_saveexec_b64 s[0:1], s[26:27]
	s_cbranch_execnz .LBB51_92
.LBB51_68:
	s_or_b64 exec, exec, s[0:1]
	s_and_saveexec_b64 s[0:1], s[28:29]
	s_cbranch_execnz .LBB51_93
.LBB51_69:
	s_or_b64 exec, exec, s[0:1]
	s_and_saveexec_b64 s[0:1], s[30:31]
	s_cbranch_execnz .LBB51_94
.LBB51_70:
	s_or_b64 exec, exec, s[0:1]
	s_and_saveexec_b64 s[0:1], s[36:37]
	s_cbranch_execnz .LBB51_95
.LBB51_71:
	s_or_b64 exec, exec, s[0:1]
	s_and_saveexec_b64 s[0:1], s[38:39]
	s_cbranch_execnz .LBB51_96
.LBB51_72:
	s_or_b64 exec, exec, s[0:1]
	s_and_saveexec_b64 s[0:1], s[40:41]
	s_cbranch_execnz .LBB51_97
.LBB51_73:
	s_or_b64 exec, exec, s[0:1]
	s_and_saveexec_b64 s[0:1], s[42:43]
	s_cbranch_execnz .LBB51_98
.LBB51_74:
	s_or_b64 exec, exec, s[0:1]
	s_and_saveexec_b64 s[0:1], s[44:45]
	s_cbranch_execnz .LBB51_99
.LBB51_75:
	s_or_b64 exec, exec, s[0:1]
	s_and_saveexec_b64 s[0:1], s[46:47]
	s_cbranch_execnz .LBB51_100
.LBB51_76:
	s_or_b64 exec, exec, s[0:1]
	s_and_saveexec_b64 s[0:1], s[48:49]
	s_cbranch_execnz .LBB51_101
.LBB51_77:
	s_or_b64 exec, exec, s[0:1]
	s_and_saveexec_b64 s[0:1], s[50:51]
	s_cbranch_execnz .LBB51_102
.LBB51_78:
	s_endpgm
.LBB51_79:
	ds_read_u16 v14, v14
	s_waitcnt lgkmcnt(0)
	global_store_short v[0:1], v14, off
	s_or_b64 exec, exec, s[0:1]
	s_and_saveexec_b64 s[0:1], s[2:3]
	s_cbranch_execz .LBB51_56
.LBB51_80:
	s_waitcnt lgkmcnt(14)
	global_store_short v[0:1], v26, off offset:512
	s_or_b64 exec, exec, s[0:1]
	s_and_saveexec_b64 s[0:1], s[4:5]
	s_cbranch_execz .LBB51_57
.LBB51_81:
	s_waitcnt lgkmcnt(14)
	global_store_short v[0:1], v25, off offset:1024
	s_or_b64 exec, exec, s[0:1]
	s_and_saveexec_b64 s[0:1], s[6:7]
	s_cbranch_execz .LBB51_58
.LBB51_82:
	s_waitcnt lgkmcnt(14)
	global_store_short v[0:1], v24, off offset:1536
	s_or_b64 exec, exec, s[0:1]
	s_and_saveexec_b64 s[0:1], s[8:9]
	s_cbranch_execz .LBB51_59
.LBB51_83:
	s_waitcnt lgkmcnt(14)
	global_store_short v[0:1], v23, off offset:2048
	s_or_b64 exec, exec, s[0:1]
	s_and_saveexec_b64 s[0:1], s[10:11]
	s_cbranch_execz .LBB51_60
.LBB51_84:
	s_waitcnt lgkmcnt(14)
	global_store_short v[0:1], v22, off offset:2560
	s_or_b64 exec, exec, s[0:1]
	s_and_saveexec_b64 s[0:1], s[12:13]
	s_cbranch_execz .LBB51_61
.LBB51_85:
	s_waitcnt lgkmcnt(14)
	global_store_short v[0:1], v21, off offset:3072
	s_or_b64 exec, exec, s[0:1]
	s_and_saveexec_b64 s[0:1], s[14:15]
	s_cbranch_execz .LBB51_62
.LBB51_86:
	s_waitcnt lgkmcnt(14)
	global_store_short v[0:1], v20, off offset:3584
	s_or_b64 exec, exec, s[0:1]
	s_and_saveexec_b64 s[0:1], s[16:17]
	s_cbranch_execz .LBB51_63
.LBB51_87:
	v_add_co_u32_e32 v14, vcc, 0x1000, v0
	s_nop 1
	v_addc_co_u32_e32 v15, vcc, 0, v1, vcc
	s_waitcnt lgkmcnt(14)
	global_store_short v[14:15], v19, off
	s_or_b64 exec, exec, s[0:1]
	s_and_saveexec_b64 s[0:1], s[18:19]
	s_cbranch_execz .LBB51_64
.LBB51_88:
	v_add_co_u32_e32 v14, vcc, 0x1000, v0
	s_nop 1
	v_addc_co_u32_e32 v15, vcc, 0, v1, vcc
	s_waitcnt lgkmcnt(14)
	global_store_short v[14:15], v18, off offset:512
	s_or_b64 exec, exec, s[0:1]
	s_and_saveexec_b64 s[0:1], s[20:21]
	s_cbranch_execz .LBB51_65
.LBB51_89:
	v_add_co_u32_e32 v14, vcc, 0x1000, v0
	s_nop 1
	v_addc_co_u32_e32 v15, vcc, 0, v1, vcc
	s_waitcnt lgkmcnt(13)
	global_store_short v[14:15], v17, off offset:1024
	s_or_b64 exec, exec, s[0:1]
	s_and_saveexec_b64 s[0:1], s[22:23]
	s_cbranch_execz .LBB51_66
.LBB51_90:
	v_add_co_u32_e32 v14, vcc, 0x1000, v0
	s_nop 1
	v_addc_co_u32_e32 v15, vcc, 0, v1, vcc
	s_waitcnt lgkmcnt(12)
	global_store_short v[14:15], v16, off offset:1536
	s_or_b64 exec, exec, s[0:1]
	s_and_saveexec_b64 s[0:1], s[24:25]
	s_cbranch_execz .LBB51_67
.LBB51_91:
	v_add_co_u32_e32 v14, vcc, 0x1000, v0
	s_nop 1
	v_addc_co_u32_e32 v15, vcc, 0, v1, vcc
	s_waitcnt lgkmcnt(11)
	global_store_short v[14:15], v13, off offset:2048
	s_or_b64 exec, exec, s[0:1]
	s_and_saveexec_b64 s[0:1], s[26:27]
	s_cbranch_execz .LBB51_68
.LBB51_92:
	v_add_co_u32_e32 v14, vcc, 0x1000, v0
	s_nop 1
	v_addc_co_u32_e32 v15, vcc, 0, v1, vcc
	s_waitcnt lgkmcnt(10)
	global_store_short v[14:15], v12, off offset:2560
	s_or_b64 exec, exec, s[0:1]
	s_and_saveexec_b64 s[0:1], s[28:29]
	s_cbranch_execz .LBB51_69
.LBB51_93:
	s_waitcnt lgkmcnt(10)
	v_add_co_u32_e32 v12, vcc, 0x1000, v0
	s_nop 1
	v_addc_co_u32_e32 v13, vcc, 0, v1, vcc
	s_waitcnt lgkmcnt(9)
	global_store_short v[12:13], v11, off offset:3072
	s_or_b64 exec, exec, s[0:1]
	s_and_saveexec_b64 s[0:1], s[30:31]
	s_cbranch_execz .LBB51_70
.LBB51_94:
	s_waitcnt lgkmcnt(10)
	v_add_co_u32_e32 v12, vcc, 0x1000, v0
	s_nop 1
	v_addc_co_u32_e32 v13, vcc, 0, v1, vcc
	s_waitcnt lgkmcnt(8)
	global_store_short v[12:13], v10, off offset:3584
	s_or_b64 exec, exec, s[0:1]
	s_and_saveexec_b64 s[0:1], s[36:37]
	s_cbranch_execz .LBB51_71
.LBB51_95:
	s_waitcnt lgkmcnt(8)
	v_add_co_u32_e32 v10, vcc, 0x2000, v0
	s_nop 1
	v_addc_co_u32_e32 v11, vcc, 0, v1, vcc
	s_waitcnt lgkmcnt(7)
	global_store_short v[10:11], v9, off
	s_or_b64 exec, exec, s[0:1]
	s_and_saveexec_b64 s[0:1], s[38:39]
	s_cbranch_execz .LBB51_72
.LBB51_96:
	s_waitcnt lgkmcnt(8)
	v_add_co_u32_e32 v10, vcc, 0x2000, v0
	s_nop 1
	v_addc_co_u32_e32 v11, vcc, 0, v1, vcc
	s_waitcnt lgkmcnt(6)
	global_store_short v[10:11], v8, off offset:512
	s_or_b64 exec, exec, s[0:1]
	s_and_saveexec_b64 s[0:1], s[40:41]
	s_cbranch_execz .LBB51_73
.LBB51_97:
	s_waitcnt lgkmcnt(6)
	v_add_co_u32_e32 v8, vcc, 0x2000, v0
	s_nop 1
	v_addc_co_u32_e32 v9, vcc, 0, v1, vcc
	s_waitcnt lgkmcnt(5)
	global_store_short v[8:9], v7, off offset:1024
	s_or_b64 exec, exec, s[0:1]
	s_and_saveexec_b64 s[0:1], s[42:43]
	s_cbranch_execz .LBB51_74
.LBB51_98:
	s_waitcnt lgkmcnt(6)
	v_add_co_u32_e32 v8, vcc, 0x2000, v0
	s_nop 1
	v_addc_co_u32_e32 v9, vcc, 0, v1, vcc
	s_waitcnt lgkmcnt(4)
	global_store_short v[8:9], v6, off offset:1536
	s_or_b64 exec, exec, s[0:1]
	s_and_saveexec_b64 s[0:1], s[44:45]
	s_cbranch_execz .LBB51_75
.LBB51_99:
	s_waitcnt lgkmcnt(4)
	v_add_co_u32_e32 v6, vcc, 0x2000, v0
	s_nop 1
	v_addc_co_u32_e32 v7, vcc, 0, v1, vcc
	s_waitcnt lgkmcnt(3)
	global_store_short v[6:7], v5, off offset:2048
	s_or_b64 exec, exec, s[0:1]
	s_and_saveexec_b64 s[0:1], s[46:47]
	s_cbranch_execz .LBB51_76
.LBB51_100:
	s_waitcnt lgkmcnt(4)
	v_add_co_u32_e32 v6, vcc, 0x2000, v0
	s_nop 1
	v_addc_co_u32_e32 v7, vcc, 0, v1, vcc
	s_waitcnt lgkmcnt(2)
	global_store_short v[6:7], v4, off offset:2560
	s_or_b64 exec, exec, s[0:1]
	s_and_saveexec_b64 s[0:1], s[48:49]
	s_cbranch_execz .LBB51_77
.LBB51_101:
	s_waitcnt lgkmcnt(2)
	v_add_co_u32_e32 v4, vcc, 0x2000, v0
	s_nop 1
	v_addc_co_u32_e32 v5, vcc, 0, v1, vcc
	s_waitcnt lgkmcnt(1)
	global_store_short v[4:5], v3, off offset:3072
	s_or_b64 exec, exec, s[0:1]
	s_and_saveexec_b64 s[0:1], s[50:51]
	s_cbranch_execz .LBB51_78
.LBB51_102:
	v_add_co_u32_e32 v0, vcc, 0x2000, v0
	s_nop 1
	v_addc_co_u32_e32 v1, vcc, 0, v1, vcc
	s_waitcnt lgkmcnt(0)
	global_store_short v[0:1], v2, off offset:3584
	s_endpgm
	.section	.rodata,"a",@progbits
	.p2align	6, 0x0
	.amdhsa_kernel _ZN7rocprim17ROCPRIM_304000_NS6detail18single_scan_kernelILb0ENS1_19wrapped_scan_configINS0_14default_configEsEEPKsPsSt4plusIsEssEEvT1_mT4_T2_T3_
		.amdhsa_group_segment_fixed_size 12288
		.amdhsa_private_segment_fixed_size 0
		.amdhsa_kernarg_size 36
		.amdhsa_user_sgpr_count 2
		.amdhsa_user_sgpr_dispatch_ptr 0
		.amdhsa_user_sgpr_queue_ptr 0
		.amdhsa_user_sgpr_kernarg_segment_ptr 1
		.amdhsa_user_sgpr_dispatch_id 0
		.amdhsa_user_sgpr_kernarg_preload_length 0
		.amdhsa_user_sgpr_kernarg_preload_offset 0
		.amdhsa_user_sgpr_private_segment_size 0
		.amdhsa_uses_dynamic_stack 0
		.amdhsa_enable_private_segment 0
		.amdhsa_system_sgpr_workgroup_id_x 1
		.amdhsa_system_sgpr_workgroup_id_y 0
		.amdhsa_system_sgpr_workgroup_id_z 0
		.amdhsa_system_sgpr_workgroup_info 0
		.amdhsa_system_vgpr_workitem_id 0
		.amdhsa_next_free_vgpr 30
		.amdhsa_next_free_sgpr 54
		.amdhsa_accum_offset 32
		.amdhsa_reserve_vcc 1
		.amdhsa_float_round_mode_32 0
		.amdhsa_float_round_mode_16_64 0
		.amdhsa_float_denorm_mode_32 3
		.amdhsa_float_denorm_mode_16_64 3
		.amdhsa_dx10_clamp 1
		.amdhsa_ieee_mode 1
		.amdhsa_fp16_overflow 0
		.amdhsa_tg_split 0
		.amdhsa_exception_fp_ieee_invalid_op 0
		.amdhsa_exception_fp_denorm_src 0
		.amdhsa_exception_fp_ieee_div_zero 0
		.amdhsa_exception_fp_ieee_overflow 0
		.amdhsa_exception_fp_ieee_underflow 0
		.amdhsa_exception_fp_ieee_inexact 0
		.amdhsa_exception_int_div_zero 0
	.end_amdhsa_kernel
	.section	.text._ZN7rocprim17ROCPRIM_304000_NS6detail18single_scan_kernelILb0ENS1_19wrapped_scan_configINS0_14default_configEsEEPKsPsSt4plusIsEssEEvT1_mT4_T2_T3_,"axG",@progbits,_ZN7rocprim17ROCPRIM_304000_NS6detail18single_scan_kernelILb0ENS1_19wrapped_scan_configINS0_14default_configEsEEPKsPsSt4plusIsEssEEvT1_mT4_T2_T3_,comdat
.Lfunc_end51:
	.size	_ZN7rocprim17ROCPRIM_304000_NS6detail18single_scan_kernelILb0ENS1_19wrapped_scan_configINS0_14default_configEsEEPKsPsSt4plusIsEssEEvT1_mT4_T2_T3_, .Lfunc_end51-_ZN7rocprim17ROCPRIM_304000_NS6detail18single_scan_kernelILb0ENS1_19wrapped_scan_configINS0_14default_configEsEEPKsPsSt4plusIsEssEEvT1_mT4_T2_T3_
                                        ; -- End function
	.section	.AMDGPU.csdata,"",@progbits
; Kernel info:
; codeLenInByte = 3696
; NumSgprs: 60
; NumVgprs: 30
; NumAgprs: 0
; TotalNumVgprs: 30
; ScratchSize: 0
; MemoryBound: 0
; FloatMode: 240
; IeeeMode: 1
; LDSByteSize: 12288 bytes/workgroup (compile time only)
; SGPRBlocks: 7
; VGPRBlocks: 3
; NumSGPRsForWavesPerEU: 60
; NumVGPRsForWavesPerEU: 30
; AccumOffset: 32
; Occupancy: 5
; WaveLimiterHint : 0
; COMPUTE_PGM_RSRC2:SCRATCH_EN: 0
; COMPUTE_PGM_RSRC2:USER_SGPR: 2
; COMPUTE_PGM_RSRC2:TRAP_HANDLER: 0
; COMPUTE_PGM_RSRC2:TGID_X_EN: 1
; COMPUTE_PGM_RSRC2:TGID_Y_EN: 0
; COMPUTE_PGM_RSRC2:TGID_Z_EN: 0
; COMPUTE_PGM_RSRC2:TIDIG_COMP_CNT: 0
; COMPUTE_PGM_RSRC3_GFX90A:ACCUM_OFFSET: 7
; COMPUTE_PGM_RSRC3_GFX90A:TG_SPLIT: 0
	.section	.text._ZN2at6native32tensor_kernel_scan_innermost_dimIsSt4plusIsEEEvPT_PKS4_jjjS4_T0_,"axG",@progbits,_ZN2at6native32tensor_kernel_scan_innermost_dimIsSt4plusIsEEEvPT_PKS4_jjjS4_T0_,comdat
	.protected	_ZN2at6native32tensor_kernel_scan_innermost_dimIsSt4plusIsEEEvPT_PKS4_jjjS4_T0_ ; -- Begin function _ZN2at6native32tensor_kernel_scan_innermost_dimIsSt4plusIsEEEvPT_PKS4_jjjS4_T0_
	.globl	_ZN2at6native32tensor_kernel_scan_innermost_dimIsSt4plusIsEEEvPT_PKS4_jjjS4_T0_
	.p2align	8
	.type	_ZN2at6native32tensor_kernel_scan_innermost_dimIsSt4plusIsEEEvPT_PKS4_jjjS4_T0_,@function
_ZN2at6native32tensor_kernel_scan_innermost_dimIsSt4plusIsEEEvPT_PKS4_jjjS4_T0_: ; @_ZN2at6native32tensor_kernel_scan_innermost_dimIsSt4plusIsEEEvPT_PKS4_jjjS4_T0_
; %bb.0:
	s_load_dwordx8 s[12:19], s[0:1], 0x0
	v_bfe_u32 v2, v0, 10, 10
	s_waitcnt lgkmcnt(0)
	s_lshl_b32 s3, 2, s18
	v_mul_lo_u32 v1, s3, v2
	s_mul_hi_u32 s4, s16, s17
	s_mov_b32 s20, s16
	v_lshl_add_u32 v18, v1, 1, 0
	s_cmp_lg_u32 s4, 0
	s_mov_b64 s[4:5], -1
	s_cbranch_scc1 .LBB52_26
; %bb.1:
	s_load_dword s6, s[0:1], 0x2c
	s_add_u32 s4, s0, 32
	s_addc_u32 s5, s1, 0
	s_waitcnt lgkmcnt(0)
	s_lshr_b32 s6, s6, 16
	s_mul_i32 s21, s2, s6
	s_cmp_ge_u32 s21, s16
	s_cbranch_scc1 .LBB52_25
; %bb.2:
	s_load_dword s27, s[4:5], 0x0
	s_lshl_b32 s26, 1, s18
	s_cmp_lg_u32 s17, 0
	v_and_b32_e32 v1, 0x3ff, v0
	s_cselect_b64 s[4:5], -1, 0
	v_lshl_add_u32 v3, v1, 1, v18
	v_add_u32_e32 v13, -2, v18
	v_cndmask_b32_e64 v4, 0, 1, s[4:5]
	v_lshl_add_u32 v12, s26, 1, v3
	v_cmp_eq_u32_e64 s[8:9], 0, v1
	v_lshl_add_u32 v14, s3, 1, v13
	s_waitcnt lgkmcnt(0)
	s_mul_i32 s27, s27, s6
	s_add_i32 s28, s18, 1
	v_cmp_ne_u32_e64 s[4:5], 1, v4
	v_mov_b32_e32 v5, 0
	s_branch .LBB52_4
.LBB52_3:                               ;   in Loop: Header=BB52_4 Depth=1
	s_add_i32 s21, s21, s27
	s_cmp_ge_u32 s21, s16
	s_cbranch_scc1 .LBB52_25
.LBB52_4:                               ; =>This Loop Header: Depth=1
                                        ;     Child Loop BB52_7 Depth 2
                                        ;       Child Loop BB52_16 Depth 3
	s_and_b64 vcc, exec, s[4:5]
	s_cbranch_vccnz .LBB52_3
; %bb.5:                                ;   in Loop: Header=BB52_4 Depth=1
	v_add_u32_e32 v10, s21, v2
	v_mul_lo_u32 v4, v10, s17
	v_lshlrev_b64 v[8:9], 1, v[4:5]
	v_lshl_add_u64 v[6:7], s[14:15], 0, v[8:9]
	v_lshl_add_u64 v[8:9], s[12:13], 0, v[8:9]
	v_cmp_gt_u32_e32 vcc, s16, v10
	v_cmp_le_u32_e64 s[6:7], s16, v10
	s_mov_b32 s29, 0
	v_mov_b32_e32 v15, s19
	s_branch .LBB52_7
.LBB52_6:                               ;   in Loop: Header=BB52_7 Depth=2
	s_or_b64 exec, exec, s[22:23]
	ds_read_u16 v15, v14
	s_add_i32 s29, s29, s3
	s_cmp_ge_u32 s29, s17
	s_waitcnt lgkmcnt(0)
	s_barrier
	s_cbranch_scc1 .LBB52_3
.LBB52_7:                               ;   Parent Loop BB52_4 Depth=1
                                        ; =>  This Loop Header: Depth=2
                                        ;       Child Loop BB52_16 Depth 3
	v_add_u32_e32 v4, s29, v1
	v_add_u32_e32 v10, s26, v4
	s_and_saveexec_b64 s[22:23], vcc
	s_cbranch_execz .LBB52_14
; %bb.8:                                ;   in Loop: Header=BB52_7 Depth=2
	v_cmp_gt_u32_e64 s[10:11], s17, v4
	v_mov_b32_e32 v11, s19
	s_and_saveexec_b64 s[24:25], s[10:11]
	s_cbranch_execz .LBB52_10
; %bb.9:                                ;   in Loop: Header=BB52_7 Depth=2
	v_lshl_add_u64 v[16:17], v[4:5], 1, v[6:7]
	global_load_ushort v11, v[16:17], off
.LBB52_10:                              ;   in Loop: Header=BB52_7 Depth=2
	s_or_b64 exec, exec, s[24:25]
	s_waitcnt vmcnt(0)
	ds_write_b16 v3, v11
	v_cmp_gt_u32_e64 s[10:11], s17, v10
	v_mov_b32_e32 v11, s19
	s_and_saveexec_b64 s[24:25], s[10:11]
	s_cbranch_execz .LBB52_12
; %bb.11:                               ;   in Loop: Header=BB52_7 Depth=2
	v_mov_b32_e32 v11, v5
	v_lshl_add_u64 v[16:17], v[10:11], 1, v[6:7]
	global_load_ushort v11, v[16:17], off
.LBB52_12:                              ;   in Loop: Header=BB52_7 Depth=2
	s_or_b64 exec, exec, s[24:25]
	s_waitcnt vmcnt(0)
	ds_write_b16 v12, v11
	s_and_b64 exec, exec, s[8:9]
	s_cbranch_execz .LBB52_14
; %bb.13:                               ;   in Loop: Header=BB52_7 Depth=2
	ds_read_u16 v11, v18
	s_waitcnt lgkmcnt(0)
	v_add_u16_e32 v11, v11, v15
	ds_write_b16 v18, v11
.LBB52_14:                              ;   in Loop: Header=BB52_7 Depth=2
	s_or_b64 exec, exec, s[22:23]
	s_mov_b64 s[22:23], 0
	v_mov_b32_e32 v11, 0
	s_waitcnt lgkmcnt(0)
	s_barrier
	s_branch .LBB52_16
.LBB52_15:                              ;   in Loop: Header=BB52_16 Depth=3
	s_or_b64 exec, exec, s[10:11]
	v_cmp_eq_u32_e64 s[10:11], s28, v11
	s_or_b64 s[22:23], s[10:11], s[22:23]
	s_waitcnt lgkmcnt(0)
	s_barrier
	s_andn2_b64 exec, exec, s[22:23]
	s_cbranch_execz .LBB52_20
.LBB52_16:                              ;   Parent Loop BB52_4 Depth=1
                                        ;     Parent Loop BB52_7 Depth=2
                                        ; =>    This Inner Loop Header: Depth=3
	v_add_u32_e32 v15, 1, v11
	s_and_saveexec_b64 s[10:11], s[6:7]
	s_xor_b64 s[10:11], exec, s[10:11]
; %bb.17:                               ;   in Loop: Header=BB52_16 Depth=3
	v_add_u32_e32 v11, 1, v11
                                        ; implicit-def: $vgpr15
; %bb.18:                               ;   in Loop: Header=BB52_16 Depth=3
	s_andn2_saveexec_b64 s[10:11], s[10:11]
	s_cbranch_execz .LBB52_15
; %bb.19:                               ;   in Loop: Header=BB52_16 Depth=3
	v_lshlrev_b32_e64 v16, v11, 1
	v_lshrrev_b32_e32 v17, v11, v1
	v_bfm_b32 v11, v11, 0
	v_lshl_or_b32 v16, v17, v15, v16
	v_and_b32_e32 v11, v11, v1
	v_lshlrev_b32_e32 v16, 1, v16
	v_lshlrev_b32_e32 v11, 1, v11
	v_add3_u32 v11, v18, v16, v11
	v_add_u32_e32 v16, v13, v16
	ds_read_u16 v17, v11
	ds_read_u16 v16, v16
	s_waitcnt lgkmcnt(0)
	v_add_u16_e32 v16, v16, v17
	ds_write_b16 v11, v16
	v_mov_b32_e32 v11, v15
	s_branch .LBB52_15
.LBB52_20:                              ;   in Loop: Header=BB52_7 Depth=2
	s_or_b64 exec, exec, s[22:23]
	s_and_saveexec_b64 s[22:23], vcc
	s_cbranch_execz .LBB52_6
; %bb.21:                               ;   in Loop: Header=BB52_7 Depth=2
	v_cmp_gt_u32_e64 s[10:11], s17, v4
	s_and_saveexec_b64 s[24:25], s[10:11]
	s_cbranch_execz .LBB52_23
; %bb.22:                               ;   in Loop: Header=BB52_7 Depth=2
	ds_read_u16 v11, v3
	v_lshl_add_u64 v[16:17], v[4:5], 1, v[8:9]
	s_waitcnt lgkmcnt(0)
	global_store_short v[16:17], v11, off
.LBB52_23:                              ;   in Loop: Header=BB52_7 Depth=2
	s_or_b64 exec, exec, s[24:25]
	v_cmp_gt_u32_e64 s[10:11], s17, v10
	s_and_b64 exec, exec, s[10:11]
	s_cbranch_execz .LBB52_6
; %bb.24:                               ;   in Loop: Header=BB52_7 Depth=2
	ds_read_u16 v4, v12
	v_mov_b32_e32 v11, v5
	v_lshl_add_u64 v[10:11], v[10:11], 1, v[8:9]
	s_waitcnt lgkmcnt(0)
	global_store_short v[10:11], v4, off
	s_branch .LBB52_6
.LBB52_25:
	s_mov_b64 s[4:5], 0
.LBB52_26:
	s_andn2_b64 vcc, exec, s[4:5]
	s_cbranch_vccnz .LBB52_53
; %bb.27:
	s_load_dword s3, s[0:1], 0x2c
	s_add_u32 s4, s0, 32
	s_mov_b32 s21, 0
	s_addc_u32 s5, s1, 0
	v_mov_b64_e32 v[4:5], s[20:21]
	s_waitcnt lgkmcnt(0)
	s_lshr_b32 s0, s3, 16
	s_mul_hi_u32 s9, s0, s2
	s_mul_i32 s8, s0, s2
	v_cmp_ge_u64_e32 vcc, s[8:9], v[4:5]
	s_cbranch_vccnz .LBB52_53
; %bb.28:
	s_lshl_b32 s10, 1, s18
	s_load_dword s4, s[4:5], 0x0
	s_and_b32 s6, 0xffff, s0
	s_ashr_i32 s11, s10, 31
	s_cmp_lg_u32 s17, 0
	s_mov_b32 s22, s17
	v_and_b32_e32 v0, 0x3ff, v0
	s_cselect_b64 s[2:3], -1, 0
	s_lshl_b64 s[16:17], s[10:11], 1
	v_mov_b32_e32 v3, 0
	v_lshl_add_u32 v19, v0, 1, v18
	s_lshl_b32 s5, s16, 1
	v_cndmask_b32_e64 v4, 0, 1, s[2:3]
	s_mov_b32 s23, s21
	v_mov_b32_e32 v1, v3
	v_lshl_add_u32 v20, s10, 1, v19
	v_cmp_eq_u32_e64 s[0:1], 0, v0
	v_add3_u32 v21, v18, s5, -2
	s_waitcnt lgkmcnt(0)
	s_mul_i32 s33, s4, s6
	s_add_i32 s18, s18, 1
	v_cmp_ne_u32_e64 s[2:3], 1, v4
	v_mov_b64_e32 v[4:5], s[20:21]
	s_branch .LBB52_30
.LBB52_29:                              ;   in Loop: Header=BB52_30 Depth=1
	s_add_u32 s8, s8, s33
	s_addc_u32 s9, s9, 0
	v_cmp_ge_u64_e32 vcc, s[8:9], v[4:5]
	s_cbranch_vccnz .LBB52_53
.LBB52_30:                              ; =>This Loop Header: Depth=1
                                        ;     Child Loop BB52_33 Depth 2
                                        ;       Child Loop BB52_43 Depth 3
	s_and_b64 vcc, exec, s[2:3]
	s_cbranch_vccnz .LBB52_29
; %bb.31:                               ;   in Loop: Header=BB52_30 Depth=1
	v_lshl_add_u64 v[10:11], s[8:9], 0, v[2:3]
	v_mad_u64_u32 v[6:7], s[4:5], v10, s22, 0
	v_mov_b32_e32 v8, v7
	v_mad_u64_u32 v[8:9], s[4:5], v11, s22, v[8:9]
	v_mov_b32_e32 v7, v8
	v_lshlrev_b64 v[8:9], 1, v[6:7]
	v_lshl_add_u64 v[6:7], s[14:15], 0, v[8:9]
	v_lshl_add_u64 v[8:9], s[12:13], 0, v[8:9]
	v_cmp_gt_u64_e64 s[4:5], s[20:21], v[10:11]
	v_cmp_le_u64_e64 s[6:7], s[20:21], v[10:11]
	s_mov_b64 s[24:25], 0
	v_mov_b32_e32 v14, s19
	s_branch .LBB52_33
.LBB52_32:                              ;   in Loop: Header=BB52_33 Depth=2
	s_or_b64 exec, exec, s[26:27]
	ds_read_u16 v14, v21
	s_add_u32 s24, s24, s16
	s_addc_u32 s25, s25, s17
	v_mov_b64_e32 v[10:11], s[22:23]
	v_cmp_ge_u64_e32 vcc, s[24:25], v[10:11]
	s_waitcnt lgkmcnt(0)
	s_barrier
	s_cbranch_vccnz .LBB52_29
.LBB52_33:                              ;   Parent Loop BB52_30 Depth=1
                                        ; =>  This Loop Header: Depth=2
                                        ;       Child Loop BB52_43 Depth 3
	v_lshl_add_u64 v[12:13], s[24:25], 0, v[0:1]
	v_lshl_add_u64 v[10:11], v[12:13], 0, s[10:11]
	s_and_saveexec_b64 s[26:27], s[4:5]
	s_cbranch_execz .LBB52_40
; %bb.34:                               ;   in Loop: Header=BB52_33 Depth=2
	v_cmp_gt_u64_e32 vcc, s[22:23], v[12:13]
	v_mov_b32_e32 v15, s19
	s_and_saveexec_b64 s[28:29], vcc
	s_cbranch_execz .LBB52_36
; %bb.35:                               ;   in Loop: Header=BB52_33 Depth=2
	v_lshl_add_u64 v[16:17], v[12:13], 1, v[6:7]
	global_load_ushort v15, v[16:17], off
.LBB52_36:                              ;   in Loop: Header=BB52_33 Depth=2
	s_or_b64 exec, exec, s[28:29]
	s_waitcnt vmcnt(0)
	ds_write_b16 v19, v15
	v_cmp_gt_u64_e32 vcc, s[22:23], v[10:11]
	v_mov_b32_e32 v15, s19
	s_and_saveexec_b64 s[28:29], vcc
	s_cbranch_execz .LBB52_38
; %bb.37:                               ;   in Loop: Header=BB52_33 Depth=2
	v_lshl_add_u64 v[16:17], v[10:11], 1, v[6:7]
	global_load_ushort v15, v[16:17], off
.LBB52_38:                              ;   in Loop: Header=BB52_33 Depth=2
	s_or_b64 exec, exec, s[28:29]
	s_waitcnt vmcnt(0)
	ds_write_b16 v20, v15
	s_and_b64 exec, exec, s[0:1]
	s_cbranch_execz .LBB52_40
; %bb.39:                               ;   in Loop: Header=BB52_33 Depth=2
	ds_read_u16 v15, v18
	s_waitcnt lgkmcnt(0)
	v_add_u16_e32 v14, v15, v14
	ds_write_b16 v18, v14
.LBB52_40:                              ;   in Loop: Header=BB52_33 Depth=2
	s_or_b64 exec, exec, s[26:27]
	s_mov_b64 s[26:27], 0
	v_mov_b32_e32 v23, 0
	s_waitcnt lgkmcnt(0)
	s_barrier
	s_branch .LBB52_43
.LBB52_41:                              ;   in Loop: Header=BB52_43 Depth=3
	s_or_b64 exec, exec, s[30:31]
	v_lshrrev_b32_e32 v15, v23, v0
	v_lshl_or_b32 v14, v15, v22, v14
	v_lshl_add_u32 v14, v14, 1, v18
	v_lshl_add_u32 v15, v16, 1, v14
	v_add_u32_e32 v14, -2, v14
	ds_read_u16 v16, v15
	ds_read_u16 v14, v14
	s_waitcnt lgkmcnt(0)
	v_add_u16_e32 v14, v14, v16
	ds_write_b16 v15, v14
.LBB52_42:                              ;   in Loop: Header=BB52_43 Depth=3
	s_or_b64 exec, exec, s[28:29]
	v_cmp_eq_u32_e32 vcc, s18, v22
	s_or_b64 s[26:27], vcc, s[26:27]
	v_mov_b32_e32 v23, v22
	s_waitcnt lgkmcnt(0)
	s_barrier
	s_andn2_b64 exec, exec, s[26:27]
	s_cbranch_execz .LBB52_48
.LBB52_43:                              ;   Parent Loop BB52_30 Depth=1
                                        ;     Parent Loop BB52_33 Depth=2
                                        ; =>    This Inner Loop Header: Depth=3
	v_add_u32_e32 v22, 1, v23
	s_and_saveexec_b64 s[28:29], s[6:7]
	s_xor_b64 s[28:29], exec, s[28:29]
; %bb.44:                               ;   in Loop: Header=BB52_43 Depth=3
	v_add_u32_e32 v22, 1, v23
                                        ; implicit-def: $vgpr23
; %bb.45:                               ;   in Loop: Header=BB52_43 Depth=3
	s_andn2_saveexec_b64 s[28:29], s[28:29]
	s_cbranch_execz .LBB52_42
; %bb.46:                               ;   in Loop: Header=BB52_43 Depth=3
	v_lshlrev_b32_e64 v14, v23, 1
	v_ashrrev_i32_e32 v15, 31, v14
	v_cmp_ge_u64_e32 vcc, v[0:1], v[14:15]
	v_mov_b64_e32 v[16:17], v[0:1]
	s_and_saveexec_b64 s[30:31], vcc
	s_cbranch_execz .LBB52_41
; %bb.47:                               ;   in Loop: Header=BB52_43 Depth=3
	v_cvt_f32_u32_e32 v15, v14
	v_sub_u32_e32 v16, 0, v14
	v_rcp_iflag_f32_e32 v15, v15
	s_nop 0
	v_mul_f32_e32 v15, 0x4f7ffffe, v15
	v_cvt_u32_f32_e32 v15, v15
	v_mul_lo_u32 v16, v16, v15
	v_mul_hi_u32 v16, v15, v16
	v_add_u32_e32 v15, v15, v16
	v_mul_hi_u32 v15, v0, v15
	v_mul_lo_u32 v15, v15, v14
	v_sub_u32_e32 v15, v0, v15
	v_sub_u32_e32 v16, v15, v14
	v_cmp_ge_u32_e32 vcc, v15, v14
	s_nop 1
	v_cndmask_b32_e32 v15, v15, v16, vcc
	v_sub_u32_e32 v16, v15, v14
	v_cmp_ge_u32_e32 vcc, v15, v14
	s_nop 1
	v_cndmask_b32_e32 v16, v15, v16, vcc
	s_branch .LBB52_41
.LBB52_48:                              ;   in Loop: Header=BB52_33 Depth=2
	s_or_b64 exec, exec, s[26:27]
	s_and_saveexec_b64 s[26:27], s[4:5]
	s_cbranch_execz .LBB52_32
; %bb.49:                               ;   in Loop: Header=BB52_33 Depth=2
	v_cmp_gt_u64_e32 vcc, s[22:23], v[12:13]
	s_and_saveexec_b64 s[28:29], vcc
	s_cbranch_execz .LBB52_51
; %bb.50:                               ;   in Loop: Header=BB52_33 Depth=2
	ds_read_u16 v14, v19
	v_lshl_add_u64 v[12:13], v[12:13], 1, v[8:9]
	s_waitcnt lgkmcnt(0)
	global_store_short v[12:13], v14, off
.LBB52_51:                              ;   in Loop: Header=BB52_33 Depth=2
	s_or_b64 exec, exec, s[28:29]
	v_cmp_gt_u64_e32 vcc, s[22:23], v[10:11]
	s_and_b64 exec, exec, vcc
	s_cbranch_execz .LBB52_32
; %bb.52:                               ;   in Loop: Header=BB52_33 Depth=2
	ds_read_u16 v12, v20
	v_lshl_add_u64 v[10:11], v[10:11], 1, v[8:9]
	s_waitcnt lgkmcnt(0)
	global_store_short v[10:11], v12, off
	s_branch .LBB52_32
.LBB52_53:
	s_endpgm
	.section	.rodata,"a",@progbits
	.p2align	6, 0x0
	.amdhsa_kernel _ZN2at6native32tensor_kernel_scan_innermost_dimIsSt4plusIsEEEvPT_PKS4_jjjS4_T0_
		.amdhsa_group_segment_fixed_size 0
		.amdhsa_private_segment_fixed_size 0
		.amdhsa_kernarg_size 288
		.amdhsa_user_sgpr_count 2
		.amdhsa_user_sgpr_dispatch_ptr 0
		.amdhsa_user_sgpr_queue_ptr 0
		.amdhsa_user_sgpr_kernarg_segment_ptr 1
		.amdhsa_user_sgpr_dispatch_id 0
		.amdhsa_user_sgpr_kernarg_preload_length 0
		.amdhsa_user_sgpr_kernarg_preload_offset 0
		.amdhsa_user_sgpr_private_segment_size 0
		.amdhsa_uses_dynamic_stack 0
		.amdhsa_enable_private_segment 0
		.amdhsa_system_sgpr_workgroup_id_x 1
		.amdhsa_system_sgpr_workgroup_id_y 0
		.amdhsa_system_sgpr_workgroup_id_z 0
		.amdhsa_system_sgpr_workgroup_info 0
		.amdhsa_system_vgpr_workitem_id 1
		.amdhsa_next_free_vgpr 24
		.amdhsa_next_free_sgpr 34
		.amdhsa_accum_offset 24
		.amdhsa_reserve_vcc 1
		.amdhsa_float_round_mode_32 0
		.amdhsa_float_round_mode_16_64 0
		.amdhsa_float_denorm_mode_32 3
		.amdhsa_float_denorm_mode_16_64 3
		.amdhsa_dx10_clamp 1
		.amdhsa_ieee_mode 1
		.amdhsa_fp16_overflow 0
		.amdhsa_tg_split 0
		.amdhsa_exception_fp_ieee_invalid_op 0
		.amdhsa_exception_fp_denorm_src 0
		.amdhsa_exception_fp_ieee_div_zero 0
		.amdhsa_exception_fp_ieee_overflow 0
		.amdhsa_exception_fp_ieee_underflow 0
		.amdhsa_exception_fp_ieee_inexact 0
		.amdhsa_exception_int_div_zero 0
	.end_amdhsa_kernel
	.section	.text._ZN2at6native32tensor_kernel_scan_innermost_dimIsSt4plusIsEEEvPT_PKS4_jjjS4_T0_,"axG",@progbits,_ZN2at6native32tensor_kernel_scan_innermost_dimIsSt4plusIsEEEvPT_PKS4_jjjS4_T0_,comdat
.Lfunc_end52:
	.size	_ZN2at6native32tensor_kernel_scan_innermost_dimIsSt4plusIsEEEvPT_PKS4_jjjS4_T0_, .Lfunc_end52-_ZN2at6native32tensor_kernel_scan_innermost_dimIsSt4plusIsEEEvPT_PKS4_jjjS4_T0_
                                        ; -- End function
	.section	.AMDGPU.csdata,"",@progbits
; Kernel info:
; codeLenInByte = 1624
; NumSgprs: 40
; NumVgprs: 24
; NumAgprs: 0
; TotalNumVgprs: 24
; ScratchSize: 0
; MemoryBound: 0
; FloatMode: 240
; IeeeMode: 1
; LDSByteSize: 0 bytes/workgroup (compile time only)
; SGPRBlocks: 4
; VGPRBlocks: 2
; NumSGPRsForWavesPerEU: 40
; NumVGPRsForWavesPerEU: 24
; AccumOffset: 24
; Occupancy: 8
; WaveLimiterHint : 0
; COMPUTE_PGM_RSRC2:SCRATCH_EN: 0
; COMPUTE_PGM_RSRC2:USER_SGPR: 2
; COMPUTE_PGM_RSRC2:TRAP_HANDLER: 0
; COMPUTE_PGM_RSRC2:TGID_X_EN: 1
; COMPUTE_PGM_RSRC2:TGID_Y_EN: 0
; COMPUTE_PGM_RSRC2:TGID_Z_EN: 0
; COMPUTE_PGM_RSRC2:TIDIG_COMP_CNT: 1
; COMPUTE_PGM_RSRC3_GFX90A:ACCUM_OFFSET: 5
; COMPUTE_PGM_RSRC3_GFX90A:TG_SPLIT: 0
	.section	.text._ZN2at6native28tensor_kernel_scan_outer_dimIsjSt4plusIsEEEvPT_PKS4_jjjS4_T1_,"axG",@progbits,_ZN2at6native28tensor_kernel_scan_outer_dimIsjSt4plusIsEEEvPT_PKS4_jjjS4_T1_,comdat
	.protected	_ZN2at6native28tensor_kernel_scan_outer_dimIsjSt4plusIsEEEvPT_PKS4_jjjS4_T1_ ; -- Begin function _ZN2at6native28tensor_kernel_scan_outer_dimIsjSt4plusIsEEEvPT_PKS4_jjjS4_T1_
	.globl	_ZN2at6native28tensor_kernel_scan_outer_dimIsjSt4plusIsEEEvPT_PKS4_jjjS4_T1_
	.p2align	8
	.type	_ZN2at6native28tensor_kernel_scan_outer_dimIsjSt4plusIsEEEvPT_PKS4_jjjS4_T1_,@function
_ZN2at6native28tensor_kernel_scan_outer_dimIsjSt4plusIsEEEvPT_PKS4_jjjS4_T1_: ; @_ZN2at6native28tensor_kernel_scan_outer_dimIsjSt4plusIsEEEvPT_PKS4_jjjS4_T1_
; %bb.0:
	s_load_dwordx4 s[8:11], s[0:1], 0x10
	s_waitcnt lgkmcnt(0)
	s_cmp_ge_u32 s2, s8
	s_cbranch_scc1 .LBB53_9
; %bb.1:
	s_load_dword s4, s[0:1], 0x2c
	s_load_dwordx4 s[12:15], s[0:1], 0x0
	s_load_dword s26, s[0:1], 0x20
	s_add_u32 s6, s0, 32
	s_addc_u32 s7, s1, 0
	s_waitcnt lgkmcnt(0)
	s_and_b32 s27, s4, 0xffff
	s_mul_i32 s3, s3, s27
	s_cmp_lg_u32 s10, 0
	v_add_u32_e32 v4, s3, v0
	s_mul_i32 s3, s2, s10
	s_cselect_b64 s[4:5], -1, 0
	s_mov_b32 s17, 0
	s_mov_b32 s16, s9
	s_mul_i32 s20, s3, s9
	s_mul_i32 s3, s26, s10
	v_cndmask_b32_e64 v0, 0, 1, s[4:5]
	v_cmp_gt_u32_e64 s[0:1], s9, v4
	s_mul_i32 s3, s3, s9
	s_lshl_b64 s[18:19], s[16:17], 1
	v_cmp_ne_u32_e64 s[4:5], 1, v0
	v_mov_b32_e32 v1, 0
	s_mov_b32 s16, s20
	s_branch .LBB53_3
.LBB53_2:                               ;   in Loop: Header=BB53_3 Depth=1
	s_or_b64 exec, exec, s[20:21]
	s_add_i32 s2, s26, s2
	s_add_i32 s16, s16, s3
	s_cmp_ge_u32 s2, s8
	s_cbranch_scc1 .LBB53_9
.LBB53_3:                               ; =>This Loop Header: Depth=1
                                        ;     Child Loop BB53_6 Depth 2
                                        ;       Child Loop BB53_8 Depth 3
	s_and_saveexec_b64 s[20:21], s[0:1]
	s_cbranch_execz .LBB53_2
; %bb.4:                                ;   in Loop: Header=BB53_3 Depth=1
	s_load_dword s28, s[6:7], 0x4
	s_lshl_b64 s[22:23], s[16:17], 1
	s_mov_b64 s[24:25], 0
	v_mov_b32_e32 v0, v4
	s_waitcnt lgkmcnt(0)
	s_mul_i32 s28, s28, s27
	s_branch .LBB53_6
.LBB53_5:                               ;   in Loop: Header=BB53_6 Depth=2
	v_add_u32_e32 v0, s28, v0
	v_cmp_le_u32_e32 vcc, s9, v0
	s_or_b64 s[24:25], vcc, s[24:25]
	s_andn2_b64 exec, exec, s[24:25]
	s_cbranch_execz .LBB53_2
.LBB53_6:                               ;   Parent Loop BB53_3 Depth=1
                                        ; =>  This Loop Header: Depth=2
                                        ;       Child Loop BB53_8 Depth 3
	s_and_b64 vcc, exec, s[4:5]
	s_cbranch_vccnz .LBB53_5
; %bb.7:                                ;   in Loop: Header=BB53_6 Depth=2
	v_lshl_add_u64 v[2:3], v[0:1], 1, s[22:23]
	v_mov_b32_e32 v5, s11
	s_mov_b32 s29, s10
.LBB53_8:                               ;   Parent Loop BB53_3 Depth=1
                                        ;     Parent Loop BB53_6 Depth=2
                                        ; =>    This Inner Loop Header: Depth=3
	v_lshl_add_u64 v[6:7], s[14:15], 0, v[2:3]
	global_load_ushort v8, v[6:7], off
	s_add_i32 s29, s29, -1
	v_lshl_add_u64 v[6:7], s[12:13], 0, v[2:3]
	v_lshl_add_u64 v[2:3], v[2:3], 0, s[18:19]
	s_cmp_eq_u32 s29, 0
	s_waitcnt vmcnt(0)
	v_add_u16_e32 v5, v8, v5
	global_store_short v[6:7], v5, off
	s_cbranch_scc0 .LBB53_8
	s_branch .LBB53_5
.LBB53_9:
	s_endpgm
	.section	.rodata,"a",@progbits
	.p2align	6, 0x0
	.amdhsa_kernel _ZN2at6native28tensor_kernel_scan_outer_dimIsjSt4plusIsEEEvPT_PKS4_jjjS4_T1_
		.amdhsa_group_segment_fixed_size 0
		.amdhsa_private_segment_fixed_size 0
		.amdhsa_kernarg_size 288
		.amdhsa_user_sgpr_count 2
		.amdhsa_user_sgpr_dispatch_ptr 0
		.amdhsa_user_sgpr_queue_ptr 0
		.amdhsa_user_sgpr_kernarg_segment_ptr 1
		.amdhsa_user_sgpr_dispatch_id 0
		.amdhsa_user_sgpr_kernarg_preload_length 0
		.amdhsa_user_sgpr_kernarg_preload_offset 0
		.amdhsa_user_sgpr_private_segment_size 0
		.amdhsa_uses_dynamic_stack 0
		.amdhsa_enable_private_segment 0
		.amdhsa_system_sgpr_workgroup_id_x 1
		.amdhsa_system_sgpr_workgroup_id_y 1
		.amdhsa_system_sgpr_workgroup_id_z 0
		.amdhsa_system_sgpr_workgroup_info 0
		.amdhsa_system_vgpr_workitem_id 0
		.amdhsa_next_free_vgpr 9
		.amdhsa_next_free_sgpr 30
		.amdhsa_accum_offset 12
		.amdhsa_reserve_vcc 1
		.amdhsa_float_round_mode_32 0
		.amdhsa_float_round_mode_16_64 0
		.amdhsa_float_denorm_mode_32 3
		.amdhsa_float_denorm_mode_16_64 3
		.amdhsa_dx10_clamp 1
		.amdhsa_ieee_mode 1
		.amdhsa_fp16_overflow 0
		.amdhsa_tg_split 0
		.amdhsa_exception_fp_ieee_invalid_op 0
		.amdhsa_exception_fp_denorm_src 0
		.amdhsa_exception_fp_ieee_div_zero 0
		.amdhsa_exception_fp_ieee_overflow 0
		.amdhsa_exception_fp_ieee_underflow 0
		.amdhsa_exception_fp_ieee_inexact 0
		.amdhsa_exception_int_div_zero 0
	.end_amdhsa_kernel
	.section	.text._ZN2at6native28tensor_kernel_scan_outer_dimIsjSt4plusIsEEEvPT_PKS4_jjjS4_T1_,"axG",@progbits,_ZN2at6native28tensor_kernel_scan_outer_dimIsjSt4plusIsEEEvPT_PKS4_jjjS4_T1_,comdat
.Lfunc_end53:
	.size	_ZN2at6native28tensor_kernel_scan_outer_dimIsjSt4plusIsEEEvPT_PKS4_jjjS4_T1_, .Lfunc_end53-_ZN2at6native28tensor_kernel_scan_outer_dimIsjSt4plusIsEEEvPT_PKS4_jjjS4_T1_
                                        ; -- End function
	.section	.AMDGPU.csdata,"",@progbits
; Kernel info:
; codeLenInByte = 316
; NumSgprs: 36
; NumVgprs: 9
; NumAgprs: 0
; TotalNumVgprs: 9
; ScratchSize: 0
; MemoryBound: 0
; FloatMode: 240
; IeeeMode: 1
; LDSByteSize: 0 bytes/workgroup (compile time only)
; SGPRBlocks: 4
; VGPRBlocks: 1
; NumSGPRsForWavesPerEU: 36
; NumVGPRsForWavesPerEU: 9
; AccumOffset: 12
; Occupancy: 8
; WaveLimiterHint : 0
; COMPUTE_PGM_RSRC2:SCRATCH_EN: 0
; COMPUTE_PGM_RSRC2:USER_SGPR: 2
; COMPUTE_PGM_RSRC2:TRAP_HANDLER: 0
; COMPUTE_PGM_RSRC2:TGID_X_EN: 1
; COMPUTE_PGM_RSRC2:TGID_Y_EN: 1
; COMPUTE_PGM_RSRC2:TGID_Z_EN: 0
; COMPUTE_PGM_RSRC2:TIDIG_COMP_CNT: 0
; COMPUTE_PGM_RSRC3_GFX90A:ACCUM_OFFSET: 2
; COMPUTE_PGM_RSRC3_GFX90A:TG_SPLIT: 0
	.section	.text._ZN2at6native28tensor_kernel_scan_outer_dimIsmSt4plusIsEEEvPT_PKS4_jjjS4_T1_,"axG",@progbits,_ZN2at6native28tensor_kernel_scan_outer_dimIsmSt4plusIsEEEvPT_PKS4_jjjS4_T1_,comdat
	.protected	_ZN2at6native28tensor_kernel_scan_outer_dimIsmSt4plusIsEEEvPT_PKS4_jjjS4_T1_ ; -- Begin function _ZN2at6native28tensor_kernel_scan_outer_dimIsmSt4plusIsEEEvPT_PKS4_jjjS4_T1_
	.globl	_ZN2at6native28tensor_kernel_scan_outer_dimIsmSt4plusIsEEEvPT_PKS4_jjjS4_T1_
	.p2align	8
	.type	_ZN2at6native28tensor_kernel_scan_outer_dimIsmSt4plusIsEEEvPT_PKS4_jjjS4_T1_,@function
_ZN2at6native28tensor_kernel_scan_outer_dimIsmSt4plusIsEEEvPT_PKS4_jjjS4_T1_: ; @_ZN2at6native28tensor_kernel_scan_outer_dimIsmSt4plusIsEEEvPT_PKS4_jjjS4_T1_
; %bb.0:
	s_load_dwordx4 s[8:11], s[0:1], 0x10
	s_waitcnt lgkmcnt(0)
	s_cmp_ge_u32 s2, s8
	s_cbranch_scc1 .LBB54_9
; %bb.1:
	s_load_dword s4, s[0:1], 0x2c
	s_load_dwordx4 s[12:15], s[0:1], 0x0
	s_load_dword s26, s[0:1], 0x20
	s_add_u32 s6, s0, 32
	s_addc_u32 s7, s1, 0
	s_waitcnt lgkmcnt(0)
	s_and_b32 s27, s4, 0xffff
	s_cmp_lg_u32 s10, 0
	s_mul_i32 s3, s3, s27
	s_cselect_b64 s[20:21], -1, 0
	v_add_u32_e32 v4, s3, v0
	s_mov_b32 s5, 0
	s_mov_b32 s4, s9
	s_mul_hi_u32 s17, s10, s9
	s_mul_i32 s16, s10, s9
	v_cndmask_b32_e64 v0, 0, 1, s[20:21]
	v_cmp_gt_u32_e64 s[0:1], s9, v4
	s_lshl_b64 s[16:17], s[16:17], 1
	s_lshl_b64 s[18:19], s[4:5], 1
	v_cmp_ne_u32_e64 s[4:5], 1, v0
	v_mov_b32_e32 v1, 0
	s_branch .LBB54_3
.LBB54_2:                               ;   in Loop: Header=BB54_3 Depth=1
	s_or_b64 exec, exec, s[20:21]
	s_add_i32 s2, s2, s26
	s_cmp_ge_u32 s2, s8
	s_cbranch_scc1 .LBB54_9
.LBB54_3:                               ; =>This Loop Header: Depth=1
                                        ;     Child Loop BB54_6 Depth 2
                                        ;       Child Loop BB54_8 Depth 3
	s_and_saveexec_b64 s[20:21], s[0:1]
	s_cbranch_execz .LBB54_2
; %bb.4:                                ;   in Loop: Header=BB54_3 Depth=1
	s_load_dword s3, s[6:7], 0x4
	s_mul_i32 s23, s17, s2
	s_mul_hi_u32 s24, s16, s2
	s_mul_i32 s22, s16, s2
	s_add_i32 s23, s24, s23
	s_waitcnt lgkmcnt(0)
	s_mul_i32 s3, s3, s27
	s_mov_b64 s[24:25], 0
	v_mov_b32_e32 v0, v4
	s_branch .LBB54_6
.LBB54_5:                               ;   in Loop: Header=BB54_6 Depth=2
	v_add_u32_e32 v0, s3, v0
	v_cmp_le_u32_e32 vcc, s9, v0
	s_or_b64 s[24:25], vcc, s[24:25]
	s_andn2_b64 exec, exec, s[24:25]
	s_cbranch_execz .LBB54_2
.LBB54_6:                               ;   Parent Loop BB54_3 Depth=1
                                        ; =>  This Loop Header: Depth=2
                                        ;       Child Loop BB54_8 Depth 3
	s_and_b64 vcc, exec, s[4:5]
	s_cbranch_vccnz .LBB54_5
; %bb.7:                                ;   in Loop: Header=BB54_6 Depth=2
	v_lshl_add_u64 v[2:3], v[0:1], 1, s[22:23]
	v_mov_b32_e32 v5, s11
	s_mov_b32 s28, s10
.LBB54_8:                               ;   Parent Loop BB54_3 Depth=1
                                        ;     Parent Loop BB54_6 Depth=2
                                        ; =>    This Inner Loop Header: Depth=3
	v_lshl_add_u64 v[6:7], s[14:15], 0, v[2:3]
	global_load_ushort v8, v[6:7], off
	s_add_i32 s28, s28, -1
	v_lshl_add_u64 v[6:7], s[12:13], 0, v[2:3]
	v_lshl_add_u64 v[2:3], v[2:3], 0, s[18:19]
	s_cmp_eq_u32 s28, 0
	s_waitcnt vmcnt(0)
	v_add_u16_e32 v5, v8, v5
	global_store_short v[6:7], v5, off
	s_cbranch_scc0 .LBB54_8
	s_branch .LBB54_5
.LBB54_9:
	s_endpgm
	.section	.rodata,"a",@progbits
	.p2align	6, 0x0
	.amdhsa_kernel _ZN2at6native28tensor_kernel_scan_outer_dimIsmSt4plusIsEEEvPT_PKS4_jjjS4_T1_
		.amdhsa_group_segment_fixed_size 0
		.amdhsa_private_segment_fixed_size 0
		.amdhsa_kernarg_size 288
		.amdhsa_user_sgpr_count 2
		.amdhsa_user_sgpr_dispatch_ptr 0
		.amdhsa_user_sgpr_queue_ptr 0
		.amdhsa_user_sgpr_kernarg_segment_ptr 1
		.amdhsa_user_sgpr_dispatch_id 0
		.amdhsa_user_sgpr_kernarg_preload_length 0
		.amdhsa_user_sgpr_kernarg_preload_offset 0
		.amdhsa_user_sgpr_private_segment_size 0
		.amdhsa_uses_dynamic_stack 0
		.amdhsa_enable_private_segment 0
		.amdhsa_system_sgpr_workgroup_id_x 1
		.amdhsa_system_sgpr_workgroup_id_y 1
		.amdhsa_system_sgpr_workgroup_id_z 0
		.amdhsa_system_sgpr_workgroup_info 0
		.amdhsa_system_vgpr_workitem_id 0
		.amdhsa_next_free_vgpr 9
		.amdhsa_next_free_sgpr 29
		.amdhsa_accum_offset 12
		.amdhsa_reserve_vcc 1
		.amdhsa_float_round_mode_32 0
		.amdhsa_float_round_mode_16_64 0
		.amdhsa_float_denorm_mode_32 3
		.amdhsa_float_denorm_mode_16_64 3
		.amdhsa_dx10_clamp 1
		.amdhsa_ieee_mode 1
		.amdhsa_fp16_overflow 0
		.amdhsa_tg_split 0
		.amdhsa_exception_fp_ieee_invalid_op 0
		.amdhsa_exception_fp_denorm_src 0
		.amdhsa_exception_fp_ieee_div_zero 0
		.amdhsa_exception_fp_ieee_overflow 0
		.amdhsa_exception_fp_ieee_underflow 0
		.amdhsa_exception_fp_ieee_inexact 0
		.amdhsa_exception_int_div_zero 0
	.end_amdhsa_kernel
	.section	.text._ZN2at6native28tensor_kernel_scan_outer_dimIsmSt4plusIsEEEvPT_PKS4_jjjS4_T1_,"axG",@progbits,_ZN2at6native28tensor_kernel_scan_outer_dimIsmSt4plusIsEEEvPT_PKS4_jjjS4_T1_,comdat
.Lfunc_end54:
	.size	_ZN2at6native28tensor_kernel_scan_outer_dimIsmSt4plusIsEEEvPT_PKS4_jjjS4_T1_, .Lfunc_end54-_ZN2at6native28tensor_kernel_scan_outer_dimIsmSt4plusIsEEEvPT_PKS4_jjjS4_T1_
                                        ; -- End function
	.section	.AMDGPU.csdata,"",@progbits
; Kernel info:
; codeLenInByte = 316
; NumSgprs: 35
; NumVgprs: 9
; NumAgprs: 0
; TotalNumVgprs: 9
; ScratchSize: 0
; MemoryBound: 0
; FloatMode: 240
; IeeeMode: 1
; LDSByteSize: 0 bytes/workgroup (compile time only)
; SGPRBlocks: 4
; VGPRBlocks: 1
; NumSGPRsForWavesPerEU: 35
; NumVGPRsForWavesPerEU: 9
; AccumOffset: 12
; Occupancy: 8
; WaveLimiterHint : 0
; COMPUTE_PGM_RSRC2:SCRATCH_EN: 0
; COMPUTE_PGM_RSRC2:USER_SGPR: 2
; COMPUTE_PGM_RSRC2:TRAP_HANDLER: 0
; COMPUTE_PGM_RSRC2:TGID_X_EN: 1
; COMPUTE_PGM_RSRC2:TGID_Y_EN: 1
; COMPUTE_PGM_RSRC2:TGID_Z_EN: 0
; COMPUTE_PGM_RSRC2:TIDIG_COMP_CNT: 0
; COMPUTE_PGM_RSRC3_GFX90A:ACCUM_OFFSET: 2
; COMPUTE_PGM_RSRC3_GFX90A:TG_SPLIT: 0
	.section	.text._ZN2at4cuda3cub15calc_block_sumsILi256ELi16ELb0EddEEvPKT2_PT3_li,"axG",@progbits,_ZN2at4cuda3cub15calc_block_sumsILi256ELi16ELb0EddEEvPKT2_PT3_li,comdat
	.protected	_ZN2at4cuda3cub15calc_block_sumsILi256ELi16ELb0EddEEvPKT2_PT3_li ; -- Begin function _ZN2at4cuda3cub15calc_block_sumsILi256ELi16ELb0EddEEvPKT2_PT3_li
	.globl	_ZN2at4cuda3cub15calc_block_sumsILi256ELi16ELb0EddEEvPKT2_PT3_li
	.p2align	8
	.type	_ZN2at4cuda3cub15calc_block_sumsILi256ELi16ELb0EddEEvPKT2_PT3_li,@function
_ZN2at4cuda3cub15calc_block_sumsILi256ELi16ELb0EddEEvPKT2_PT3_li: ; @_ZN2at4cuda3cub15calc_block_sumsILi256ELi16ELb0EddEEvPKT2_PT3_li
; %bb.0:
	s_load_dword s16, s[0:1], 0x18
	s_load_dwordx2 s[12:13], s[0:1], 0x10
	s_waitcnt lgkmcnt(0)
	s_lshl_b32 s3, s16, 12
	s_ashr_i32 s4, s3, 31
	s_mul_hi_u32 s5, s3, s2
	s_mul_i32 s4, s4, s2
	s_add_i32 s15, s5, s4
	s_mul_i32 s14, s3, s2
	s_sub_u32 s8, s12, s14
	s_subb_u32 s9, s13, s15
	v_cmp_lt_i64_e64 s[4:5], s[8:9], 1
	s_and_b64 vcc, exec, s[4:5]
	s_cbranch_vccnz .LBB55_54
; %bb.1:
	s_load_dwordx4 s[4:7], s[0:1], 0x0
	s_cmp_gt_i32 s16, 0
	s_mov_b32 s3, 0
	s_cbranch_scc1 .LBB55_3
; %bb.2:
	s_mov_b64 s[10:11], 0
	s_mov_b64 s[0:1], 0
	v_mov_b64_e32 v[38:39], s[0:1]
	s_cbranch_execz .LBB55_4
	s_branch .LBB55_52
.LBB55_3:
	s_mov_b64 s[10:11], -1
                                        ; implicit-def: $sgpr0_sgpr1
	v_mov_b64_e32 v[38:39], s[0:1]
.LBB55_4:
	s_mul_i32 s10, s2, s16
	s_lshl_b32 s10, s10, 12
	s_sub_i32 s17, s12, s10
	s_lshl_b64 s[10:11], s[14:15], 3
	v_lshrrev_b32_e32 v2, 3, v0
	v_mov_b32_e32 v4, 0
	s_waitcnt lgkmcnt(0)
	s_add_u32 s4, s4, s10
	v_and_b32_e32 v58, 0x78, v2
	v_lshlrev_b32_e32 v2, 3, v0
	v_mov_b32_e32 v3, v4
	s_addc_u32 s5, s5, s11
	v_lshl_add_u64 v[42:43], s[4:5], 0, v[2:3]
	v_mbcnt_lo_u32_b32 v2, -1, 0
	v_mbcnt_hi_u32_b32 v59, -1, v2
	v_bfrev_b32_e32 v2, 0.5
	v_add_u32_e32 v1, 0x100, v0
	v_add_u32_e32 v44, 0x200, v0
	v_add_u32_e32 v45, 0x300, v0
	v_or_b32_e32 v46, 0x400, v0
	v_add_u32_e32 v47, 0x500, v0
	v_add_u32_e32 v48, 0x600, v0
	v_add_u32_e32 v49, 0x700, v0
	v_or_b32_e32 v50, 0x800, v0
	;; [unrolled: 4-line block ×3, first 2 shown]
	v_add_u32_e32 v55, 0xd00, v0
	v_add_u32_e32 v56, 0xe00, v0
	;; [unrolled: 1-line block ×3, first 2 shown]
	v_cmp_gt_u32_e64 s[0:1], 64, v0
	s_mov_b32 s36, 0
	s_mov_b64 s[10:11], -1
	v_mov_b64_e32 v[38:39], 0
	v_mov_b64_e32 v[40:41], 0x1000
	s_mov_b64 s[4:5], 0x8000
	v_lshl_or_b32 v60, v59, 2, v2
	s_mov_b32 s14, 0
	s_branch .LBB55_6
.LBB55_5:                               ;   in Loop: Header=BB55_6 Depth=1
	s_add_u32 s8, s8, 0xfffff000
	s_addc_u32 s9, s9, -1
	s_add_i32 s14, s14, 1
	s_cmp_lt_i32 s14, s16
	s_cselect_b64 s[10:11], -1, 0
	s_addk_i32 s17, 0xf000
	s_cmp_eq_u32 s16, s14
	v_lshl_add_u64 v[42:43], v[42:43], 0, s[4:5]
	s_cselect_b64 s[12:13], -1, 0
	s_barrier
	s_andn2_b64 vcc, exec, s[12:13]
	s_cbranch_vccz .LBB55_52
.LBB55_6:                               ; =>This Inner Loop Header: Depth=1
	v_cmp_lt_i64_e32 vcc, s[8:9], v[40:41]
	s_mov_b64 s[12:13], -1
                                        ; implicit-def: $vgpr2_vgpr3
	s_cbranch_vccz .LBB55_29
; %bb.7:                                ;   in Loop: Header=BB55_6 Depth=1
	s_mov_b32 s37, s36
	s_mov_b32 s38, s36
	;; [unrolled: 1-line block ×31, first 2 shown]
	v_mov_b64_e32 v[6:7], s[36:37]
	v_cmp_gt_u32_e32 vcc, s17, v0
	v_mov_b64_e32 v[8:9], s[38:39]
	v_mov_b64_e32 v[10:11], s[40:41]
	;; [unrolled: 1-line block ×15, first 2 shown]
	s_and_saveexec_b64 s[12:13], vcc
	s_cbranch_execnz .LBB55_37
; %bb.8:                                ;   in Loop: Header=BB55_6 Depth=1
	s_or_b64 exec, exec, s[12:13]
	v_cmp_gt_u32_e32 vcc, s17, v1
	s_and_saveexec_b64 s[12:13], vcc
	s_cbranch_execnz .LBB55_38
.LBB55_9:                               ;   in Loop: Header=BB55_6 Depth=1
	s_or_b64 exec, exec, s[12:13]
	v_cmp_gt_u32_e32 vcc, s17, v44
	s_and_saveexec_b64 s[12:13], vcc
	s_cbranch_execnz .LBB55_39
.LBB55_10:                              ;   in Loop: Header=BB55_6 Depth=1
	s_or_b64 exec, exec, s[12:13]
	v_cmp_gt_u32_e32 vcc, s17, v45
	s_and_saveexec_b64 s[12:13], vcc
	s_cbranch_execnz .LBB55_40
.LBB55_11:                              ;   in Loop: Header=BB55_6 Depth=1
	s_or_b64 exec, exec, s[12:13]
	v_cmp_gt_u32_e32 vcc, s17, v46
	s_and_saveexec_b64 s[12:13], vcc
	s_cbranch_execnz .LBB55_41
.LBB55_12:                              ;   in Loop: Header=BB55_6 Depth=1
	s_or_b64 exec, exec, s[12:13]
	v_cmp_gt_u32_e32 vcc, s17, v47
	s_and_saveexec_b64 s[12:13], vcc
	s_cbranch_execnz .LBB55_42
.LBB55_13:                              ;   in Loop: Header=BB55_6 Depth=1
	s_or_b64 exec, exec, s[12:13]
	v_cmp_gt_u32_e32 vcc, s17, v48
	s_and_saveexec_b64 s[12:13], vcc
	s_cbranch_execnz .LBB55_43
.LBB55_14:                              ;   in Loop: Header=BB55_6 Depth=1
	s_or_b64 exec, exec, s[12:13]
	v_cmp_gt_u32_e32 vcc, s17, v49
	s_and_saveexec_b64 s[12:13], vcc
	s_cbranch_execnz .LBB55_44
.LBB55_15:                              ;   in Loop: Header=BB55_6 Depth=1
	s_or_b64 exec, exec, s[12:13]
	v_cmp_gt_u32_e32 vcc, s17, v50
	s_and_saveexec_b64 s[12:13], vcc
	s_cbranch_execnz .LBB55_45
.LBB55_16:                              ;   in Loop: Header=BB55_6 Depth=1
	s_or_b64 exec, exec, s[12:13]
	v_cmp_gt_u32_e32 vcc, s17, v51
	s_and_saveexec_b64 s[12:13], vcc
	s_cbranch_execnz .LBB55_46
.LBB55_17:                              ;   in Loop: Header=BB55_6 Depth=1
	s_or_b64 exec, exec, s[12:13]
	v_cmp_gt_u32_e32 vcc, s17, v52
	s_and_saveexec_b64 s[12:13], vcc
	s_cbranch_execnz .LBB55_47
.LBB55_18:                              ;   in Loop: Header=BB55_6 Depth=1
	s_or_b64 exec, exec, s[12:13]
	v_cmp_gt_u32_e32 vcc, s17, v53
	s_and_saveexec_b64 s[12:13], vcc
	s_cbranch_execnz .LBB55_48
.LBB55_19:                              ;   in Loop: Header=BB55_6 Depth=1
	s_or_b64 exec, exec, s[12:13]
	v_cmp_gt_u32_e32 vcc, s17, v54
	s_and_saveexec_b64 s[12:13], vcc
	s_cbranch_execnz .LBB55_49
.LBB55_20:                              ;   in Loop: Header=BB55_6 Depth=1
	s_or_b64 exec, exec, s[12:13]
	v_cmp_gt_u32_e32 vcc, s17, v55
	s_and_saveexec_b64 s[12:13], vcc
	s_cbranch_execnz .LBB55_50
.LBB55_21:                              ;   in Loop: Header=BB55_6 Depth=1
	s_or_b64 exec, exec, s[12:13]
	v_cmp_gt_u32_e32 vcc, s17, v56
	s_and_saveexec_b64 s[12:13], vcc
	s_cbranch_execnz .LBB55_51
.LBB55_22:                              ;   in Loop: Header=BB55_6 Depth=1
	s_or_b64 exec, exec, s[12:13]
	v_cmp_gt_u32_e32 vcc, s17, v57
	s_and_saveexec_b64 s[12:13], vcc
	s_cbranch_execz .LBB55_24
.LBB55_23:                              ;   in Loop: Header=BB55_6 Depth=1
	v_add_co_u32_e32 v2, vcc, 0x7000, v42
	s_nop 1
	v_addc_co_u32_e32 v3, vcc, 0, v43, vcc
	global_load_dwordx2 v[36:37], v[2:3], off offset:2048
.LBB55_24:                              ;   in Loop: Header=BB55_6 Depth=1
	s_or_b64 exec, exec, s[12:13]
	s_waitcnt vmcnt(0)
	v_add_f64 v[2:3], v[6:7], v[8:9]
	v_add_f64 v[2:3], v[10:11], v[2:3]
	;; [unrolled: 1-line block ×15, first 2 shown]
	v_cmp_eq_u32_e32 vcc, 0, v59
	s_nop 0
	v_mov_b32_dpp v6, v2 quad_perm:[1,0,3,2] row_mask:0xf bank_mask:0xf
	v_mov_b32_dpp v7, v3 quad_perm:[1,0,3,2] row_mask:0xf bank_mask:0xf
	v_add_f64 v[2:3], v[2:3], v[6:7]
	s_barrier
	s_nop 0
	v_mov_b32_dpp v6, v2 quad_perm:[2,3,0,1] row_mask:0xf bank_mask:0xf
	v_mov_b32_dpp v7, v3 quad_perm:[2,3,0,1] row_mask:0xf bank_mask:0xf
	v_add_f64 v[2:3], v[2:3], v[6:7]
	s_nop 1
	v_mov_b32_dpp v6, v2 row_ror:4 row_mask:0xf bank_mask:0xf
	v_mov_b32_dpp v7, v3 row_ror:4 row_mask:0xf bank_mask:0xf
	v_add_f64 v[2:3], v[2:3], v[6:7]
	s_nop 1
	v_mov_b32_dpp v6, v2 row_ror:8 row_mask:0xf bank_mask:0xf
	v_mov_b32_dpp v7, v3 row_ror:8 row_mask:0xf bank_mask:0xf
	v_add_f64 v[2:3], v[2:3], v[6:7]
	s_nop 1
	v_mov_b32_dpp v6, v2 row_bcast:15 row_mask:0xf bank_mask:0xf
	v_mov_b32_dpp v7, v3 row_bcast:15 row_mask:0xf bank_mask:0xf
	v_add_f64 v[2:3], v[2:3], v[6:7]
	s_nop 1
	v_mov_b32_dpp v6, v2 row_bcast:31 row_mask:0xf bank_mask:0xf
	v_mov_b32_dpp v7, v3 row_bcast:31 row_mask:0xf bank_mask:0xf
	v_add_f64 v[2:3], v[2:3], v[6:7]
	ds_bpermute_b32 v2, v60, v2
	ds_bpermute_b32 v3, v60, v3
	s_and_saveexec_b64 s[12:13], vcc
	s_cbranch_execz .LBB55_26
; %bb.25:                               ;   in Loop: Header=BB55_6 Depth=1
	s_waitcnt lgkmcnt(0)
	ds_write_b64 v58, v[2:3]
.LBB55_26:                              ;   in Loop: Header=BB55_6 Depth=1
	s_or_b64 exec, exec, s[12:13]
	s_waitcnt lgkmcnt(0)
	s_barrier
	s_and_saveexec_b64 s[12:13], s[0:1]
	s_cbranch_execz .LBB55_28
; %bb.27:                               ;   in Loop: Header=BB55_6 Depth=1
	v_and_b32_e32 v5, 3, v59
	v_lshlrev_b32_e32 v2, 3, v5
	ds_read_b64 v[2:3], v2
	v_cmp_ne_u32_e32 vcc, 3, v5
	s_nop 1
	v_addc_co_u32_e32 v6, vcc, 0, v59, vcc
	v_lshlrev_b32_e32 v7, 2, v6
	s_waitcnt lgkmcnt(0)
	ds_bpermute_b32 v6, v7, v2
	ds_bpermute_b32 v7, v7, v3
	v_cmp_gt_u32_e32 vcc, 2, v5
	s_waitcnt lgkmcnt(0)
	v_add_f64 v[2:3], v[2:3], v[6:7]
	v_cndmask_b32_e64 v5, 0, 1, vcc
	v_lshlrev_b32_e32 v5, 1, v5
	v_add_lshl_u32 v5, v5, v59, 2
	ds_bpermute_b32 v6, v5, v2
	ds_bpermute_b32 v7, v5, v3
	s_waitcnt lgkmcnt(0)
	v_add_f64 v[2:3], v[2:3], v[6:7]
.LBB55_28:                              ;   in Loop: Header=BB55_6 Depth=1
	s_or_b64 exec, exec, s[12:13]
	s_mov_b64 s[12:13], 0
.LBB55_29:                              ;   in Loop: Header=BB55_6 Depth=1
	s_and_b64 vcc, exec, s[12:13]
	s_cbranch_vccz .LBB55_35
; %bb.30:                               ;   in Loop: Header=BB55_6 Depth=1
	global_load_dwordx2 v[2:3], v[42:43], off
	global_load_dwordx2 v[6:7], v[42:43], off offset:2048
	v_add_co_u32_e32 v8, vcc, 0x1000, v42
	s_waitcnt vmcnt(0)
	v_add_f64 v[2:3], v[2:3], v[6:7]
	v_addc_co_u32_e32 v9, vcc, 0, v43, vcc
	v_add_co_u32_e32 v10, vcc, 0x2000, v42
	s_nop 1
	v_addc_co_u32_e32 v11, vcc, 0, v43, vcc
	global_load_dwordx2 v[12:13], v[8:9], off
	global_load_dwordx2 v[14:15], v[8:9], off offset:2048
	global_load_dwordx2 v[16:17], v[10:11], off
	global_load_dwordx2 v[18:19], v[10:11], off offset:2048
	v_add_co_u32_e32 v8, vcc, 0x3000, v42
	s_waitcnt vmcnt(3)
	v_add_f64 v[2:3], v[2:3], v[12:13]
	v_addc_co_u32_e32 v9, vcc, 0, v43, vcc
	v_add_co_u32_e32 v10, vcc, 0x4000, v42
	s_waitcnt vmcnt(2)
	v_add_f64 v[2:3], v[2:3], v[14:15]
	v_addc_co_u32_e32 v11, vcc, 0, v43, vcc
	global_load_dwordx2 v[20:21], v[8:9], off
	global_load_dwordx2 v[22:23], v[8:9], off offset:2048
	global_load_dwordx2 v[24:25], v[10:11], off
	global_load_dwordx2 v[26:27], v[10:11], off offset:2048
	v_add_co_u32_e32 v8, vcc, 0x5000, v42
	s_waitcnt vmcnt(5)
	v_add_f64 v[2:3], v[2:3], v[16:17]
	v_addc_co_u32_e32 v9, vcc, 0, v43, vcc
	v_add_co_u32_e32 v10, vcc, 0x6000, v42
	s_waitcnt vmcnt(4)
	v_add_f64 v[2:3], v[2:3], v[18:19]
	v_addc_co_u32_e32 v11, vcc, 0, v43, vcc
	global_load_dwordx2 v[28:29], v[8:9], off
	global_load_dwordx2 v[30:31], v[8:9], off offset:2048
	global_load_dwordx2 v[32:33], v[10:11], off
	global_load_dwordx2 v[34:35], v[10:11], off offset:2048
	v_add_co_u32_e32 v8, vcc, 0x7000, v42
	s_waitcnt vmcnt(7)
	v_add_f64 v[2:3], v[2:3], v[20:21]
	v_addc_co_u32_e32 v9, vcc, 0, v43, vcc
	global_load_dwordx2 v[10:11], v[8:9], off
	global_load_dwordx2 v[36:37], v[8:9], off offset:2048
	s_waitcnt vmcnt(8)
	v_add_f64 v[2:3], v[2:3], v[22:23]
	s_waitcnt vmcnt(7)
	v_add_f64 v[2:3], v[2:3], v[24:25]
	;; [unrolled: 2-line block ×3, first 2 shown]
	v_cmp_eq_u32_e32 vcc, 0, v59
	s_barrier
	s_waitcnt vmcnt(5)
	v_add_f64 v[2:3], v[2:3], v[28:29]
	s_waitcnt vmcnt(4)
	v_add_f64 v[2:3], v[2:3], v[30:31]
	;; [unrolled: 2-line block ×6, first 2 shown]
	s_nop 1
	v_mov_b32_dpp v6, v2 quad_perm:[1,0,3,2] row_mask:0xf bank_mask:0xf
	v_mov_b32_dpp v7, v3 quad_perm:[1,0,3,2] row_mask:0xf bank_mask:0xf
	v_add_f64 v[2:3], v[2:3], v[6:7]
	s_nop 1
	v_mov_b32_dpp v6, v2 quad_perm:[2,3,0,1] row_mask:0xf bank_mask:0xf
	v_mov_b32_dpp v7, v3 quad_perm:[2,3,0,1] row_mask:0xf bank_mask:0xf
	v_add_f64 v[2:3], v[2:3], v[6:7]
	s_nop 1
	v_mov_b32_dpp v6, v2 row_ror:4 row_mask:0xf bank_mask:0xf
	v_mov_b32_dpp v7, v3 row_ror:4 row_mask:0xf bank_mask:0xf
	v_add_f64 v[2:3], v[2:3], v[6:7]
	s_nop 1
	v_mov_b32_dpp v6, v2 row_ror:8 row_mask:0xf bank_mask:0xf
	v_mov_b32_dpp v7, v3 row_ror:8 row_mask:0xf bank_mask:0xf
	v_add_f64 v[2:3], v[2:3], v[6:7]
	s_nop 1
	v_mov_b32_dpp v6, v2 row_bcast:15 row_mask:0xf bank_mask:0xf
	v_mov_b32_dpp v7, v3 row_bcast:15 row_mask:0xf bank_mask:0xf
	v_add_f64 v[2:3], v[2:3], v[6:7]
	s_nop 1
	v_mov_b32_dpp v6, v2 row_bcast:31 row_mask:0xf bank_mask:0xf
	v_mov_b32_dpp v7, v3 row_bcast:31 row_mask:0xf bank_mask:0xf
	v_add_f64 v[2:3], v[2:3], v[6:7]
	ds_bpermute_b32 v2, v60, v2
	ds_bpermute_b32 v3, v60, v3
	s_and_saveexec_b64 s[12:13], vcc
	s_cbranch_execz .LBB55_32
; %bb.31:                               ;   in Loop: Header=BB55_6 Depth=1
	s_waitcnt lgkmcnt(0)
	ds_write_b64 v58, v[2:3]
.LBB55_32:                              ;   in Loop: Header=BB55_6 Depth=1
	s_or_b64 exec, exec, s[12:13]
	s_waitcnt lgkmcnt(0)
	s_barrier
	s_and_saveexec_b64 s[12:13], s[0:1]
	s_cbranch_execz .LBB55_34
; %bb.33:                               ;   in Loop: Header=BB55_6 Depth=1
	v_and_b32_e32 v5, 3, v59
	v_lshlrev_b32_e32 v2, 3, v5
	ds_read_b64 v[2:3], v2
	v_cmp_ne_u32_e32 vcc, 3, v5
	s_nop 1
	v_addc_co_u32_e32 v6, vcc, 0, v59, vcc
	v_lshlrev_b32_e32 v7, 2, v6
	s_waitcnt lgkmcnt(0)
	ds_bpermute_b32 v6, v7, v2
	ds_bpermute_b32 v7, v7, v3
	v_cmp_gt_u32_e32 vcc, 2, v5
	s_waitcnt lgkmcnt(0)
	v_add_f64 v[2:3], v[2:3], v[6:7]
	v_cndmask_b32_e64 v5, 0, 1, vcc
	v_lshlrev_b32_e32 v5, 1, v5
	v_add_lshl_u32 v5, v5, v59, 2
	ds_bpermute_b32 v6, v5, v2
	ds_bpermute_b32 v7, v5, v3
	s_waitcnt lgkmcnt(0)
	v_add_f64 v[2:3], v[2:3], v[6:7]
.LBB55_34:                              ;   in Loop: Header=BB55_6 Depth=1
	s_or_b64 exec, exec, s[12:13]
.LBB55_35:                              ;   in Loop: Header=BB55_6 Depth=1
	v_add_f64 v[38:39], v[38:39], v[2:3]
	v_mov_b64_e32 v[2:3], 0x1001
	v_cmp_lt_i64_e32 vcc, s[8:9], v[2:3]
	s_cbranch_vccz .LBB55_5
; %bb.36:
                                        ; implicit-def: $sgpr14
                                        ; implicit-def: $sgpr8_sgpr9
                                        ; implicit-def: $sgpr17
                                        ; implicit-def: $vgpr42_vgpr43
	s_branch .LBB55_52
.LBB55_37:                              ;   in Loop: Header=BB55_6 Depth=1
	global_load_dwordx2 v[2:3], v[42:43], off
	v_mov_b32_e32 v6, v4
	v_mov_b32_e32 v7, v4
	;; [unrolled: 1-line block ×29, first 2 shown]
	s_waitcnt vmcnt(0)
	v_mov_b64_e32 v[36:37], v[32:33]
	v_mov_b64_e32 v[34:35], v[30:31]
	;; [unrolled: 1-line block ×16, first 2 shown]
	s_or_b64 exec, exec, s[12:13]
	v_cmp_gt_u32_e32 vcc, s17, v1
	s_and_saveexec_b64 s[12:13], vcc
	s_cbranch_execz .LBB55_9
.LBB55_38:                              ;   in Loop: Header=BB55_6 Depth=1
	global_load_dwordx2 v[8:9], v[42:43], off offset:2048
	s_or_b64 exec, exec, s[12:13]
	v_cmp_gt_u32_e32 vcc, s17, v44
	s_and_saveexec_b64 s[12:13], vcc
	s_cbranch_execz .LBB55_10
.LBB55_39:                              ;   in Loop: Header=BB55_6 Depth=1
	v_add_co_u32_e32 v2, vcc, 0x1000, v42
	s_nop 1
	v_addc_co_u32_e32 v3, vcc, 0, v43, vcc
	global_load_dwordx2 v[10:11], v[2:3], off
	s_or_b64 exec, exec, s[12:13]
	v_cmp_gt_u32_e32 vcc, s17, v45
	s_and_saveexec_b64 s[12:13], vcc
	s_cbranch_execz .LBB55_11
.LBB55_40:                              ;   in Loop: Header=BB55_6 Depth=1
	v_add_co_u32_e32 v2, vcc, 0x1000, v42
	s_nop 1
	v_addc_co_u32_e32 v3, vcc, 0, v43, vcc
	global_load_dwordx2 v[12:13], v[2:3], off offset:2048
	s_or_b64 exec, exec, s[12:13]
	v_cmp_gt_u32_e32 vcc, s17, v46
	s_and_saveexec_b64 s[12:13], vcc
	s_cbranch_execz .LBB55_12
.LBB55_41:                              ;   in Loop: Header=BB55_6 Depth=1
	v_add_co_u32_e32 v2, vcc, 0x2000, v42
	s_nop 1
	v_addc_co_u32_e32 v3, vcc, 0, v43, vcc
	global_load_dwordx2 v[14:15], v[2:3], off
	s_or_b64 exec, exec, s[12:13]
	v_cmp_gt_u32_e32 vcc, s17, v47
	s_and_saveexec_b64 s[12:13], vcc
	s_cbranch_execz .LBB55_13
.LBB55_42:                              ;   in Loop: Header=BB55_6 Depth=1
	v_add_co_u32_e32 v2, vcc, 0x2000, v42
	s_nop 1
	v_addc_co_u32_e32 v3, vcc, 0, v43, vcc
	global_load_dwordx2 v[16:17], v[2:3], off offset:2048
	s_or_b64 exec, exec, s[12:13]
	v_cmp_gt_u32_e32 vcc, s17, v48
	s_and_saveexec_b64 s[12:13], vcc
	s_cbranch_execz .LBB55_14
.LBB55_43:                              ;   in Loop: Header=BB55_6 Depth=1
	v_add_co_u32_e32 v2, vcc, 0x3000, v42
	s_nop 1
	v_addc_co_u32_e32 v3, vcc, 0, v43, vcc
	global_load_dwordx2 v[18:19], v[2:3], off
	s_or_b64 exec, exec, s[12:13]
	v_cmp_gt_u32_e32 vcc, s17, v49
	s_and_saveexec_b64 s[12:13], vcc
	s_cbranch_execz .LBB55_15
.LBB55_44:                              ;   in Loop: Header=BB55_6 Depth=1
	v_add_co_u32_e32 v2, vcc, 0x3000, v42
	s_nop 1
	v_addc_co_u32_e32 v3, vcc, 0, v43, vcc
	global_load_dwordx2 v[20:21], v[2:3], off offset:2048
	s_or_b64 exec, exec, s[12:13]
	v_cmp_gt_u32_e32 vcc, s17, v50
	s_and_saveexec_b64 s[12:13], vcc
	s_cbranch_execz .LBB55_16
.LBB55_45:                              ;   in Loop: Header=BB55_6 Depth=1
	v_add_co_u32_e32 v2, vcc, 0x4000, v42
	s_nop 1
	v_addc_co_u32_e32 v3, vcc, 0, v43, vcc
	global_load_dwordx2 v[22:23], v[2:3], off
	s_or_b64 exec, exec, s[12:13]
	v_cmp_gt_u32_e32 vcc, s17, v51
	s_and_saveexec_b64 s[12:13], vcc
	s_cbranch_execz .LBB55_17
.LBB55_46:                              ;   in Loop: Header=BB55_6 Depth=1
	v_add_co_u32_e32 v2, vcc, 0x4000, v42
	s_nop 1
	v_addc_co_u32_e32 v3, vcc, 0, v43, vcc
	global_load_dwordx2 v[24:25], v[2:3], off offset:2048
	s_or_b64 exec, exec, s[12:13]
	v_cmp_gt_u32_e32 vcc, s17, v52
	s_and_saveexec_b64 s[12:13], vcc
	s_cbranch_execz .LBB55_18
.LBB55_47:                              ;   in Loop: Header=BB55_6 Depth=1
	v_add_co_u32_e32 v2, vcc, 0x5000, v42
	s_nop 1
	v_addc_co_u32_e32 v3, vcc, 0, v43, vcc
	global_load_dwordx2 v[26:27], v[2:3], off
	s_or_b64 exec, exec, s[12:13]
	v_cmp_gt_u32_e32 vcc, s17, v53
	s_and_saveexec_b64 s[12:13], vcc
	s_cbranch_execz .LBB55_19
.LBB55_48:                              ;   in Loop: Header=BB55_6 Depth=1
	v_add_co_u32_e32 v2, vcc, 0x5000, v42
	s_nop 1
	v_addc_co_u32_e32 v3, vcc, 0, v43, vcc
	global_load_dwordx2 v[28:29], v[2:3], off offset:2048
	s_or_b64 exec, exec, s[12:13]
	v_cmp_gt_u32_e32 vcc, s17, v54
	s_and_saveexec_b64 s[12:13], vcc
	s_cbranch_execz .LBB55_20
.LBB55_49:                              ;   in Loop: Header=BB55_6 Depth=1
	v_add_co_u32_e32 v2, vcc, 0x6000, v42
	s_nop 1
	v_addc_co_u32_e32 v3, vcc, 0, v43, vcc
	global_load_dwordx2 v[30:31], v[2:3], off
	s_or_b64 exec, exec, s[12:13]
	v_cmp_gt_u32_e32 vcc, s17, v55
	s_and_saveexec_b64 s[12:13], vcc
	s_cbranch_execz .LBB55_21
.LBB55_50:                              ;   in Loop: Header=BB55_6 Depth=1
	v_add_co_u32_e32 v2, vcc, 0x6000, v42
	s_nop 1
	v_addc_co_u32_e32 v3, vcc, 0, v43, vcc
	global_load_dwordx2 v[32:33], v[2:3], off offset:2048
	s_or_b64 exec, exec, s[12:13]
	v_cmp_gt_u32_e32 vcc, s17, v56
	s_and_saveexec_b64 s[12:13], vcc
	s_cbranch_execz .LBB55_22
.LBB55_51:                              ;   in Loop: Header=BB55_6 Depth=1
	v_add_co_u32_e32 v2, vcc, 0x7000, v42
	s_nop 1
	v_addc_co_u32_e32 v3, vcc, 0, v43, vcc
	global_load_dwordx2 v[34:35], v[2:3], off
	s_or_b64 exec, exec, s[12:13]
	v_cmp_gt_u32_e32 vcc, s17, v57
	s_and_saveexec_b64 s[12:13], vcc
	s_cbranch_execnz .LBB55_23
	s_branch .LBB55_24
.LBB55_52:
	v_cmp_eq_u32_e32 vcc, 0, v0
	s_xor_b64 s[0:1], s[10:11], -1
	s_and_b64 s[0:1], vcc, s[0:1]
	s_waitcnt lgkmcnt(0)
	s_and_saveexec_b64 s[4:5], s[0:1]
	s_cbranch_execz .LBB55_54
; %bb.53:
	s_lshl_b64 s[0:1], s[2:3], 3
	s_add_u32 s0, s6, s0
	s_addc_u32 s1, s7, s1
	v_mov_b32_e32 v0, 0
	global_store_dwordx2 v0, v[38:39], s[0:1]
.LBB55_54:
	s_endpgm
	.section	.rodata,"a",@progbits
	.p2align	6, 0x0
	.amdhsa_kernel _ZN2at4cuda3cub15calc_block_sumsILi256ELi16ELb0EddEEvPKT2_PT3_li
		.amdhsa_group_segment_fixed_size 32
		.amdhsa_private_segment_fixed_size 0
		.amdhsa_kernarg_size 28
		.amdhsa_user_sgpr_count 2
		.amdhsa_user_sgpr_dispatch_ptr 0
		.amdhsa_user_sgpr_queue_ptr 0
		.amdhsa_user_sgpr_kernarg_segment_ptr 1
		.amdhsa_user_sgpr_dispatch_id 0
		.amdhsa_user_sgpr_kernarg_preload_length 0
		.amdhsa_user_sgpr_kernarg_preload_offset 0
		.amdhsa_user_sgpr_private_segment_size 0
		.amdhsa_uses_dynamic_stack 0
		.amdhsa_enable_private_segment 0
		.amdhsa_system_sgpr_workgroup_id_x 1
		.amdhsa_system_sgpr_workgroup_id_y 0
		.amdhsa_system_sgpr_workgroup_id_z 0
		.amdhsa_system_sgpr_workgroup_info 0
		.amdhsa_system_vgpr_workitem_id 0
		.amdhsa_next_free_vgpr 61
		.amdhsa_next_free_sgpr 68
		.amdhsa_accum_offset 64
		.amdhsa_reserve_vcc 1
		.amdhsa_float_round_mode_32 0
		.amdhsa_float_round_mode_16_64 0
		.amdhsa_float_denorm_mode_32 3
		.amdhsa_float_denorm_mode_16_64 3
		.amdhsa_dx10_clamp 1
		.amdhsa_ieee_mode 1
		.amdhsa_fp16_overflow 0
		.amdhsa_tg_split 0
		.amdhsa_exception_fp_ieee_invalid_op 0
		.amdhsa_exception_fp_denorm_src 0
		.amdhsa_exception_fp_ieee_div_zero 0
		.amdhsa_exception_fp_ieee_overflow 0
		.amdhsa_exception_fp_ieee_underflow 0
		.amdhsa_exception_fp_ieee_inexact 0
		.amdhsa_exception_int_div_zero 0
	.end_amdhsa_kernel
	.section	.text._ZN2at4cuda3cub15calc_block_sumsILi256ELi16ELb0EddEEvPKT2_PT3_li,"axG",@progbits,_ZN2at4cuda3cub15calc_block_sumsILi256ELi16ELb0EddEEvPKT2_PT3_li,comdat
.Lfunc_end55:
	.size	_ZN2at4cuda3cub15calc_block_sumsILi256ELi16ELb0EddEEvPKT2_PT3_li, .Lfunc_end55-_ZN2at4cuda3cub15calc_block_sumsILi256ELi16ELb0EddEEvPKT2_PT3_li
                                        ; -- End function
	.section	.AMDGPU.csdata,"",@progbits
; Kernel info:
; codeLenInByte = 2976
; NumSgprs: 74
; NumVgprs: 61
; NumAgprs: 0
; TotalNumVgprs: 61
; ScratchSize: 0
; MemoryBound: 1
; FloatMode: 240
; IeeeMode: 1
; LDSByteSize: 32 bytes/workgroup (compile time only)
; SGPRBlocks: 9
; VGPRBlocks: 7
; NumSGPRsForWavesPerEU: 74
; NumVGPRsForWavesPerEU: 61
; AccumOffset: 64
; Occupancy: 8
; WaveLimiterHint : 1
; COMPUTE_PGM_RSRC2:SCRATCH_EN: 0
; COMPUTE_PGM_RSRC2:USER_SGPR: 2
; COMPUTE_PGM_RSRC2:TRAP_HANDLER: 0
; COMPUTE_PGM_RSRC2:TGID_X_EN: 1
; COMPUTE_PGM_RSRC2:TGID_Y_EN: 0
; COMPUTE_PGM_RSRC2:TGID_Z_EN: 0
; COMPUTE_PGM_RSRC2:TIDIG_COMP_CNT: 0
; COMPUTE_PGM_RSRC3_GFX90A:ACCUM_OFFSET: 15
; COMPUTE_PGM_RSRC3_GFX90A:TG_SPLIT: 0
	.section	.text._ZN2at4cuda3cub17final_scan_kernelILi256ELi16EdEEvPKT1_PS3_S6_li,"axG",@progbits,_ZN2at4cuda3cub17final_scan_kernelILi256ELi16EdEEvPKT1_PS3_S6_li,comdat
	.protected	_ZN2at4cuda3cub17final_scan_kernelILi256ELi16EdEEvPKT1_PS3_S6_li ; -- Begin function _ZN2at4cuda3cub17final_scan_kernelILi256ELi16EdEEvPKT1_PS3_S6_li
	.globl	_ZN2at4cuda3cub17final_scan_kernelILi256ELi16EdEEvPKT1_PS3_S6_li
	.p2align	8
	.type	_ZN2at4cuda3cub17final_scan_kernelILi256ELi16EdEEvPKT1_PS3_S6_li,@function
_ZN2at4cuda3cub17final_scan_kernelILi256ELi16EdEEvPKT1_PS3_S6_li: ; @_ZN2at4cuda3cub17final_scan_kernelILi256ELi16EdEEvPKT1_PS3_S6_li
; %bb.0:
	s_load_dword s33, s[0:1], 0x20
	s_load_dwordx8 s[40:47], s[0:1], 0x0
	s_waitcnt lgkmcnt(0)
	s_lshl_b32 s3, s33, 12
	s_ashr_i32 s4, s3, 31
	s_mul_hi_u32 s5, s3, s2
	s_mul_i32 s4, s4, s2
	s_add_i32 s31, s5, s4
	s_mul_i32 s30, s3, s2
	s_sub_u32 s34, s46, s30
	s_subb_u32 s35, s47, s31
	v_cmp_lt_i64_e64 s[4:5], s[34:35], 1
	s_and_b64 vcc, exec, s[4:5]
	s_cbranch_vccnz .LBB56_100
; %bb.1:
	v_cmp_gt_u32_e32 vcc, s2, v0
	v_mov_b64_e32 v[2:3], 0
	v_lshlrev_b32_e32 v80, 3, v0
	s_and_saveexec_b64 s[4:5], vcc
	s_cbranch_execz .LBB56_3
; %bb.2:
	global_load_dwordx2 v[2:3], v80, s[44:45]
.LBB56_3:
	s_or_b64 exec, exec, s[4:5]
	s_load_dword s0, s[0:1], 0x34
	s_waitcnt lgkmcnt(0)
	s_and_b32 s3, s0, 0xffff
	v_add_u32_e32 v4, s3, v0
	v_cmp_gt_u32_e32 vcc, s2, v4
	s_and_saveexec_b64 s[0:1], vcc
	s_cbranch_execz .LBB56_7
; %bb.4:
	s_mov_b64 s[4:5], 0
	v_mov_b32_e32 v5, 0
.LBB56_5:                               ; =>This Inner Loop Header: Depth=1
	v_lshl_add_u64 v[6:7], v[4:5], 3, s[44:45]
	global_load_dwordx2 v[6:7], v[6:7], off
	v_add_u32_e32 v4, s3, v4
	v_cmp_le_u32_e32 vcc, s2, v4
	s_or_b64 s[4:5], vcc, s[4:5]
	s_waitcnt vmcnt(0)
	v_add_f64 v[2:3], v[2:3], v[6:7]
	s_andn2_b64 exec, exec, s[4:5]
	s_cbranch_execnz .LBB56_5
; %bb.6:
	s_or_b64 exec, exec, s[4:5]
.LBB56_7:
	s_or_b64 exec, exec, s[0:1]
	s_waitcnt vmcnt(0)
	v_mov_b32_dpp v4, v2 quad_perm:[1,0,3,2] row_mask:0xf bank_mask:0xf
	v_mov_b32_dpp v5, v3 quad_perm:[1,0,3,2] row_mask:0xf bank_mask:0xf
	v_add_f64 v[2:3], v[2:3], v[4:5]
	v_mbcnt_lo_u32_b32 v1, -1, 0
	v_mbcnt_hi_u32_b32 v1, -1, v1
	v_mov_b32_dpp v4, v2 quad_perm:[2,3,0,1] row_mask:0xf bank_mask:0xf
	v_mov_b32_dpp v5, v3 quad_perm:[2,3,0,1] row_mask:0xf bank_mask:0xf
	v_add_f64 v[2:3], v[2:3], v[4:5]
	v_cmp_ne_u32_e64 s[0:1], 0, v1
	v_cmp_eq_u32_e64 s[2:3], 0, v1
	v_mov_b32_dpp v4, v2 row_ror:4 row_mask:0xf bank_mask:0xf
	v_mov_b32_dpp v5, v3 row_ror:4 row_mask:0xf bank_mask:0xf
	v_add_f64 v[2:3], v[2:3], v[4:5]
	s_nop 1
	v_mov_b32_dpp v4, v2 row_ror:8 row_mask:0xf bank_mask:0xf
	v_mov_b32_dpp v5, v3 row_ror:8 row_mask:0xf bank_mask:0xf
	v_add_f64 v[2:3], v[2:3], v[4:5]
	s_nop 1
	v_mov_b32_dpp v4, v2 row_bcast:15 row_mask:0xf bank_mask:0xf
	v_mov_b32_dpp v5, v3 row_bcast:15 row_mask:0xf bank_mask:0xf
	v_add_f64 v[2:3], v[2:3], v[4:5]
	s_nop 1
	v_mov_b32_dpp v4, v2 row_bcast:31 row_mask:0xf bank_mask:0xf
	v_mov_b32_dpp v5, v3 row_bcast:31 row_mask:0xf bank_mask:0xf
	v_add_f64 v[2:3], v[2:3], v[4:5]
	v_bfrev_b32_e32 v4, 0.5
	v_lshl_or_b32 v4, v1, 2, v4
	ds_bpermute_b32 v36, v4, v2
	ds_bpermute_b32 v37, v4, v3
	s_and_saveexec_b64 s[4:5], s[2:3]
	s_cbranch_execz .LBB56_9
; %bb.8:
	v_lshrrev_b32_e32 v2, 3, v0
	v_and_b32_e32 v2, 0x78, v2
	s_waitcnt lgkmcnt(0)
	ds_write_b64 v2, v[36:37]
.LBB56_9:
	s_or_b64 exec, exec, s[4:5]
	v_cmp_lt_u32_e64 s[4:5], 63, v0
	v_cmp_gt_u32_e64 s[6:7], 64, v0
	v_and_b32_e32 v2, 3, v1
	s_waitcnt lgkmcnt(0)
	s_barrier
	s_and_saveexec_b64 s[8:9], s[6:7]
	s_cbranch_execz .LBB56_11
; %bb.10:
	v_lshlrev_b32_e32 v3, 3, v2
	ds_read_b64 v[4:5], v3
	v_cmp_ne_u32_e32 vcc, 3, v2
	s_nop 1
	v_addc_co_u32_e32 v3, vcc, 0, v1, vcc
	v_lshlrev_b32_e32 v3, 2, v3
	s_waitcnt lgkmcnt(0)
	ds_bpermute_b32 v6, v3, v4
	ds_bpermute_b32 v7, v3, v5
	v_cmp_gt_u32_e32 vcc, 2, v2
	s_waitcnt lgkmcnt(0)
	v_add_f64 v[4:5], v[4:5], v[6:7]
	v_cndmask_b32_e64 v3, 0, 1, vcc
	v_lshlrev_b32_e32 v3, 1, v3
	v_add_lshl_u32 v3, v3, v1, 2
	ds_bpermute_b32 v6, v3, v4
	ds_bpermute_b32 v7, v3, v5
	s_waitcnt lgkmcnt(0)
	v_add_f64 v[36:37], v[4:5], v[6:7]
.LBB56_11:
	s_or_b64 exec, exec, s[8:9]
	s_cmp_lt_i32 s33, 1
	s_barrier
	s_cbranch_scc1 .LBB56_100
; %bb.12:
	v_lshlrev_b32_e32 v3, 4, v0
	s_movk_i32 s8, 0x3c00
	v_and_or_b32 v81, v3, s8, v1
	v_add_u32_e32 v82, 64, v81
	v_lshrrev_b32_e32 v3, 5, v81
	v_or_b32_e32 v83, 0x80, v81
	v_add_lshl_u32 v97, v3, v81, 3
	v_lshrrev_b32_e32 v3, 5, v82
	v_add_u32_e32 v84, 0xc0, v81
	v_add_lshl_u32 v98, v3, v82, 3
	v_lshrrev_b32_e32 v3, 5, v83
	v_or_b32_e32 v85, 0x100, v81
	v_add_lshl_u32 v99, v3, v83, 3
	v_lshrrev_b32_e32 v3, 5, v84
	v_add_u32_e32 v86, 0x140, v81
	v_add_lshl_u32 v100, v3, v84, 3
	;; [unrolled: 6-line block ×7, first 2 shown]
	v_lshrrev_b32_e32 v3, 5, v95
	v_add_lshl_u32 v111, v3, v95, 3
	v_lshrrev_b32_e32 v3, 5, v96
	v_add_lshl_u32 v112, v3, v96, 3
	v_and_b32_e32 v3, 0x3c0, v0
	v_add_u32_e32 v4, v1, v3
	v_min_u32_e32 v3, 0xc0, v3
	v_or_b32_e32 v3, 63, v3
	v_lshlrev_b32_e32 v5, 4, v4
	v_bfe_u32 v4, v4, 1, 27
	v_cmp_eq_u32_e64 s[20:21], v3, v0
	v_cmp_eq_u32_e64 s[24:25], 0, v2
	v_cmp_lt_u32_e64 s[26:27], 1, v2
	v_add_u32_e32 v2, -1, v1
	v_and_b32_e32 v3, 64, v1
	v_add_lshl_u32 v113, v4, v5, 3
	v_and_b32_e32 v4, 15, v1
	v_cmp_lt_i32_e32 vcc, v2, v3
	v_cmp_eq_u32_e64 s[8:9], 0, v4
	v_cmp_lt_u32_e64 s[10:11], 1, v4
	v_cmp_lt_u32_e64 s[12:13], 3, v4
	v_cmp_lt_u32_e64 s[14:15], 7, v4
	v_and_b32_e32 v4, 16, v1
	v_cndmask_b32_e32 v2, v2, v1, vcc
	v_cmp_eq_u32_e64 s[16:17], 0, v4
	v_lshrrev_b32_e32 v4, 6, v0
	v_lshlrev_b32_e32 v116, 2, v2
	v_mov_b32_e32 v2, 0
	v_cmp_lt_u32_e64 s[18:19], 31, v1
	v_cmp_gt_u32_e64 s[22:23], 4, v0
	v_cmp_eq_u32_e64 s[28:29], 0, v0
	v_lshlrev_b32_e32 v38, 3, v1
	v_lshlrev_b32_e32 v0, 13, v4
	v_mov_b32_e32 v1, v2
	v_lshlrev_b32_e32 v114, 3, v4
	v_lshl_add_u64 v[0:1], s[30:31], 3, v[0:1]
	s_mov_b32 s36, 0
	v_add_u32_e32 v115, -8, v114
	v_mov_b32_e32 v39, v2
	v_lshl_add_u64 v[44:45], s[40:41], 0, v[0:1]
	v_lshl_add_u64 v[46:47], s[42:43], 0, v[0:1]
	v_mov_b64_e32 v[40:41], 0x1000
	v_mov_b64_e32 v[42:43], 0xfff
	s_mov_b64 s[68:69], 0x8000
	s_branch .LBB56_14
.LBB56_13:                              ;   in Loop: Header=BB56_14 Depth=1
	s_add_u32 s34, s34, 0xfffff000
	s_addc_u32 s35, s35, -1
	s_add_i32 s33, s33, -1
	s_cmp_eq_u32 s33, 0
	v_lshl_add_u64 v[44:45], v[44:45], 0, s[68:69]
	v_lshl_add_u64 v[46:47], v[46:47], 0, s[68:69]
	s_cselect_b64 s[30:31], -1, 0
	s_waitcnt lgkmcnt(0)
	s_barrier
	s_andn2_b64 vcc, exec, s[30:31]
	s_cbranch_vccz .LBB56_100
.LBB56_14:                              ; =>This Inner Loop Header: Depth=1
	v_cmp_gt_i64_e32 vcc, s[34:35], v[42:43]
	s_mov_b64 s[38:39], -1
	v_cmp_gt_u32_e64 s[30:31], s34, v81
	s_cbranch_vccnz .LBB56_33
; %bb.15:                               ;   in Loop: Header=BB56_14 Depth=1
	s_mov_b32 s37, s36
	s_mov_b32 s38, s36
	;; [unrolled: 1-line block ×31, first 2 shown]
	s_waitcnt lgkmcnt(0)
	v_mov_b64_e32 v[4:5], s[36:37]
	v_lshl_add_u64 v[48:49], v[44:45], 0, v[38:39]
	v_mov_b64_e32 v[6:7], s[38:39]
	v_mov_b64_e32 v[8:9], s[40:41]
	;; [unrolled: 1-line block ×15, first 2 shown]
	s_and_saveexec_b64 s[38:39], s[30:31]
	s_cbranch_execnz .LBB56_85
; %bb.16:                               ;   in Loop: Header=BB56_14 Depth=1
	s_or_b64 exec, exec, s[38:39]
	v_cmp_gt_u32_e32 vcc, s34, v82
	s_and_saveexec_b64 s[30:31], vcc
	s_cbranch_execnz .LBB56_86
.LBB56_17:                              ;   in Loop: Header=BB56_14 Depth=1
	s_or_b64 exec, exec, s[30:31]
	v_cmp_gt_u32_e32 vcc, s34, v83
	s_and_saveexec_b64 s[30:31], vcc
	s_cbranch_execnz .LBB56_87
.LBB56_18:                              ;   in Loop: Header=BB56_14 Depth=1
	s_or_b64 exec, exec, s[30:31]
	v_cmp_gt_u32_e32 vcc, s34, v84
	s_and_saveexec_b64 s[30:31], vcc
	s_cbranch_execnz .LBB56_88
.LBB56_19:                              ;   in Loop: Header=BB56_14 Depth=1
	s_or_b64 exec, exec, s[30:31]
	v_cmp_gt_u32_e32 vcc, s34, v85
	s_and_saveexec_b64 s[30:31], vcc
	s_cbranch_execnz .LBB56_89
.LBB56_20:                              ;   in Loop: Header=BB56_14 Depth=1
	s_or_b64 exec, exec, s[30:31]
	v_cmp_gt_u32_e32 vcc, s34, v86
	s_and_saveexec_b64 s[30:31], vcc
	s_cbranch_execnz .LBB56_90
.LBB56_21:                              ;   in Loop: Header=BB56_14 Depth=1
	s_or_b64 exec, exec, s[30:31]
	v_cmp_gt_u32_e32 vcc, s34, v87
	s_and_saveexec_b64 s[30:31], vcc
	s_cbranch_execnz .LBB56_91
.LBB56_22:                              ;   in Loop: Header=BB56_14 Depth=1
	s_or_b64 exec, exec, s[30:31]
	v_cmp_gt_u32_e32 vcc, s34, v88
	s_and_saveexec_b64 s[30:31], vcc
	s_cbranch_execnz .LBB56_92
.LBB56_23:                              ;   in Loop: Header=BB56_14 Depth=1
	s_or_b64 exec, exec, s[30:31]
	v_cmp_gt_u32_e32 vcc, s34, v89
	s_and_saveexec_b64 s[30:31], vcc
	s_cbranch_execnz .LBB56_93
.LBB56_24:                              ;   in Loop: Header=BB56_14 Depth=1
	s_or_b64 exec, exec, s[30:31]
	v_cmp_gt_u32_e32 vcc, s34, v90
	s_and_saveexec_b64 s[30:31], vcc
	s_cbranch_execnz .LBB56_94
.LBB56_25:                              ;   in Loop: Header=BB56_14 Depth=1
	s_or_b64 exec, exec, s[30:31]
	v_cmp_gt_u32_e32 vcc, s34, v91
	s_and_saveexec_b64 s[30:31], vcc
	s_cbranch_execnz .LBB56_95
.LBB56_26:                              ;   in Loop: Header=BB56_14 Depth=1
	s_or_b64 exec, exec, s[30:31]
	v_cmp_gt_u32_e32 vcc, s34, v92
	s_and_saveexec_b64 s[30:31], vcc
	s_cbranch_execnz .LBB56_96
.LBB56_27:                              ;   in Loop: Header=BB56_14 Depth=1
	s_or_b64 exec, exec, s[30:31]
	v_cmp_gt_u32_e32 vcc, s34, v93
	s_and_saveexec_b64 s[30:31], vcc
	s_cbranch_execnz .LBB56_97
.LBB56_28:                              ;   in Loop: Header=BB56_14 Depth=1
	s_or_b64 exec, exec, s[30:31]
	v_cmp_gt_u32_e32 vcc, s34, v94
	s_and_saveexec_b64 s[30:31], vcc
	s_cbranch_execnz .LBB56_98
.LBB56_29:                              ;   in Loop: Header=BB56_14 Depth=1
	s_or_b64 exec, exec, s[30:31]
	v_cmp_gt_u32_e32 vcc, s34, v95
	s_and_saveexec_b64 s[30:31], vcc
	s_cbranch_execnz .LBB56_99
.LBB56_30:                              ;   in Loop: Header=BB56_14 Depth=1
	s_or_b64 exec, exec, s[30:31]
	v_cmp_gt_u32_e32 vcc, s34, v96
	s_and_saveexec_b64 s[30:31], vcc
	s_cbranch_execz .LBB56_32
.LBB56_31:                              ;   in Loop: Header=BB56_14 Depth=1
	v_add_co_u32_e32 v0, vcc, 0x1000, v48
	s_nop 1
	v_addc_co_u32_e32 v1, vcc, 0, v49, vcc
	global_load_dwordx2 v[34:35], v[0:1], off offset:3584
.LBB56_32:                              ;   in Loop: Header=BB56_14 Depth=1
	s_or_b64 exec, exec, s[30:31]
	s_mov_b64 s[38:39], 0
	ds_write_b64 v97, v[4:5]
	s_waitcnt vmcnt(0)
	ds_write_b64 v98, v[6:7]
	ds_write_b64 v99, v[8:9]
	;; [unrolled: 1-line block ×15, first 2 shown]
	; wave barrier
.LBB56_33:                              ;   in Loop: Header=BB56_14 Depth=1
	s_and_b64 vcc, exec, s[38:39]
	s_cbranch_vccz .LBB56_35
; %bb.34:                               ;   in Loop: Header=BB56_14 Depth=1
	v_lshl_add_u64 v[0:1], v[44:45], 0, v[38:39]
	global_load_dwordx2 v[4:5], v[0:1], off
	global_load_dwordx2 v[6:7], v[0:1], off offset:512
	global_load_dwordx2 v[8:9], v[0:1], off offset:1024
	global_load_dwordx2 v[10:11], v[0:1], off offset:1536
	global_load_dwordx2 v[12:13], v[0:1], off offset:2048
	global_load_dwordx2 v[14:15], v[0:1], off offset:2560
	global_load_dwordx2 v[16:17], v[0:1], off offset:3072
	global_load_dwordx2 v[18:19], v[0:1], off offset:3584
	v_add_co_u32_e32 v0, vcc, 0x1000, v0
	s_nop 1
	v_addc_co_u32_e32 v1, vcc, 0, v1, vcc
	s_waitcnt lgkmcnt(0)
	global_load_dwordx2 v[20:21], v[0:1], off
	global_load_dwordx2 v[22:23], v[0:1], off offset:512
	global_load_dwordx2 v[24:25], v[0:1], off offset:1024
	;; [unrolled: 1-line block ×6, first 2 shown]
	s_nop 0
	global_load_dwordx2 v[0:1], v[0:1], off offset:3584
	s_waitcnt vmcnt(15)
	ds_write_b64 v97, v[4:5]
	s_waitcnt vmcnt(14)
	ds_write_b64 v98, v[6:7]
	;; [unrolled: 2-line block ×16, first 2 shown]
	; wave barrier
.LBB56_35:                              ;   in Loop: Header=BB56_14 Depth=1
	ds_read2_b64 v[4:7], v113 offset1:1
	ds_read2_b64 v[8:11], v113 offset0:2 offset1:3
	ds_read2_b64 v[12:15], v113 offset0:4 offset1:5
	;; [unrolled: 1-line block ×3, first 2 shown]
	s_waitcnt lgkmcnt(4)
	ds_read2_b64 v[20:23], v113 offset0:8 offset1:9
	ds_read2_b64 v[24:27], v113 offset0:10 offset1:11
	;; [unrolled: 1-line block ×4, first 2 shown]
	s_waitcnt lgkmcnt(7)
	v_add_f64 v[0:1], v[4:5], v[6:7]
	s_waitcnt lgkmcnt(6)
	v_add_f64 v[0:1], v[8:9], v[0:1]
	v_add_f64 v[0:1], v[10:11], v[0:1]
	s_waitcnt lgkmcnt(5)
	v_add_f64 v[0:1], v[12:13], v[0:1]
	;; [unrolled: 3-line block ×7, first 2 shown]
	v_add_f64 v[0:1], v[34:35], v[0:1]
	s_barrier
	s_nop 0
	v_mov_b32_dpp v48, v0 row_shr:1 row_mask:0xf bank_mask:0xf
	v_mov_b32_dpp v49, v1 row_shr:1 row_mask:0xf bank_mask:0xf
	v_add_f64 v[48:49], v[0:1], v[48:49]
	v_cndmask_b32_e64 v48, v48, v0, s[8:9]
	v_cndmask_b32_e64 v49, v49, v1, s[8:9]
	s_nop 0
	v_mov_b32_dpp v50, v48 row_shr:2 row_mask:0xf bank_mask:0xf
	v_mov_b32_dpp v51, v49 row_shr:2 row_mask:0xf bank_mask:0xf
	v_add_f64 v[50:51], v[48:49], v[50:51]
	v_cndmask_b32_e64 v48, v48, v50, s[10:11]
	v_cndmask_b32_e64 v49, v49, v51, s[10:11]
	;; [unrolled: 6-line block ×4, first 2 shown]
	s_nop 0
	v_mov_b32_dpp v50, v48 row_bcast:15 row_mask:0xf bank_mask:0xf
	v_mov_b32_dpp v51, v49 row_bcast:15 row_mask:0xf bank_mask:0xf
	v_add_f64 v[52:53], v[48:49], v[50:51]
	v_cndmask_b32_e64 v3, v53, v49, s[16:17]
	v_cndmask_b32_e64 v50, v52, v48, s[16:17]
	s_nop 0
	v_mov_b32_dpp v51, v3 row_bcast:31 row_mask:0xf bank_mask:0xf
	v_mov_b32_dpp v50, v50 row_bcast:31 row_mask:0xf bank_mask:0xf
	s_and_saveexec_b64 s[30:31], s[0:1]
; %bb.36:                               ;   in Loop: Header=BB56_14 Depth=1
	v_cndmask_b32_e64 v1, v53, v49, s[16:17]
	v_cndmask_b32_e64 v0, v52, v48, s[16:17]
	v_add_f64 v[48:49], v[0:1], v[50:51]
	v_cndmask_b32_e64 v1, v1, v49, s[18:19]
	v_cndmask_b32_e64 v0, v0, v48, s[18:19]
; %bb.37:                               ;   in Loop: Header=BB56_14 Depth=1
	s_or_b64 exec, exec, s[30:31]
	s_and_saveexec_b64 s[30:31], s[20:21]
	s_cbranch_execz .LBB56_39
; %bb.38:                               ;   in Loop: Header=BB56_14 Depth=1
	ds_write_b64 v114, v[0:1]
.LBB56_39:                              ;   in Loop: Header=BB56_14 Depth=1
	s_or_b64 exec, exec, s[30:31]
	s_waitcnt lgkmcnt(0)
	s_barrier
	s_and_saveexec_b64 s[30:31], s[22:23]
	s_cbranch_execz .LBB56_41
; %bb.40:                               ;   in Loop: Header=BB56_14 Depth=1
	ds_read_b64 v[48:49], v80
	s_waitcnt lgkmcnt(0)
	s_nop 0
	v_mov_b32_dpp v50, v48 row_shr:1 row_mask:0xf bank_mask:0xf
	v_mov_b32_dpp v51, v49 row_shr:1 row_mask:0xf bank_mask:0xf
	v_add_f64 v[50:51], v[48:49], v[50:51]
	v_cndmask_b32_e64 v49, v51, v49, s[24:25]
	v_cndmask_b32_e64 v48, v50, v48, s[24:25]
	s_nop 0
	v_mov_b32_dpp v51, v49 row_shr:2 row_mask:0xf bank_mask:0xf
	v_mov_b32_dpp v50, v48 row_shr:2 row_mask:0xf bank_mask:0xf
	v_add_f64 v[50:51], v[48:49], v[50:51]
	v_cndmask_b32_e64 v49, v49, v51, s[26:27]
	v_cndmask_b32_e64 v48, v48, v50, s[26:27]
	ds_write_b64 v80, v[48:49]
.LBB56_41:                              ;   in Loop: Header=BB56_14 Depth=1
	s_or_b64 exec, exec, s[30:31]
	s_waitcnt lgkmcnt(0)
	s_barrier
	s_waitcnt lgkmcnt(0)
                                        ; implicit-def: $vgpr48_vgpr49
	s_and_saveexec_b64 s[30:31], s[4:5]
	s_cbranch_execz .LBB56_43
; %bb.42:                               ;   in Loop: Header=BB56_14 Depth=1
	ds_read_b64 v[48:49], v115
	s_waitcnt lgkmcnt(0)
	v_add_f64 v[0:1], v[0:1], v[48:49]
.LBB56_43:                              ;   in Loop: Header=BB56_14 Depth=1
	s_or_b64 exec, exec, s[30:31]
	ds_bpermute_b32 v3, v116, v0
	ds_bpermute_b32 v50, v116, v1
	s_and_saveexec_b64 s[30:31], s[6:7]
	s_cbranch_execz .LBB56_47
; %bb.44:                               ;   in Loop: Header=BB56_14 Depth=1
	ds_read_b64 v[0:1], v2 offset:24
	s_and_saveexec_b64 s[38:39], s[28:29]
	s_cbranch_execz .LBB56_46
; %bb.45:                               ;   in Loop: Header=BB56_14 Depth=1
	ds_write_b64 v2, v[36:37] offset:24
.LBB56_46:                              ;   in Loop: Header=BB56_14 Depth=1
	s_or_b64 exec, exec, s[38:39]
	s_waitcnt lgkmcnt(0)
	v_add_f64 v[36:37], v[36:37], v[0:1]
.LBB56_47:                              ;   in Loop: Header=BB56_14 Depth=1
	s_or_b64 exec, exec, s[30:31]
	s_waitcnt lgkmcnt(0)
	v_cndmask_b32_e64 v1, v50, v49, s[2:3]
	s_barrier
	ds_read_b64 v[50:51], v2 offset:24
	v_cndmask_b32_e64 v0, v3, v48, s[2:3]
	v_add_f64 v[0:1], v[4:5], v[0:1]
	v_cndmask_b32_e64 v1, v1, v5, s[28:29]
	v_cndmask_b32_e64 v0, v0, v4, s[28:29]
	s_waitcnt lgkmcnt(0)
	v_add_f64 v[60:61], v[0:1], v[50:51]
	v_add_f64 v[62:63], v[6:7], v[60:61]
	;; [unrolled: 1-line block ×14, first 2 shown]
	v_cmp_lt_i64_e32 vcc, s[34:35], v[40:41]
	v_add_f64 v[4:5], v[32:33], v[10:11]
	v_add_f64 v[6:7], v[34:35], v[4:5]
	v_lshl_add_u64 v[0:1], v[46:47], 0, v[38:39]
	s_barrier
	s_cbranch_vccz .LBB56_70
; %bb.48:                               ;   in Loop: Header=BB56_14 Depth=1
	ds_write2_b64 v113, v[60:61], v[62:63] offset1:1
	ds_write2_b64 v113, v[56:57], v[58:59] offset0:2 offset1:3
	ds_write2_b64 v113, v[52:53], v[54:55] offset0:4 offset1:5
	;; [unrolled: 1-line block ×7, first 2 shown]
	; wave barrier
	ds_read_b64 v[78:79], v97
	ds_read_b64 v[76:77], v98
	ds_read_b64 v[74:75], v99
	ds_read_b64 v[72:73], v100
	ds_read_b64 v[70:71], v101
	ds_read_b64 v[68:69], v102
	ds_read_b64 v[66:67], v103
	ds_read_b64 v[64:65], v104
	ds_read_b64 v[34:35], v105
	ds_read_b64 v[32:33], v106
	ds_read_b64 v[30:31], v107
	ds_read_b64 v[28:29], v108
	ds_read_b64 v[26:27], v109
	ds_read_b64 v[24:25], v110
	ds_read_b64 v[22:23], v111
	ds_read_b64 v[20:21], v112
	v_cmp_gt_u32_e32 vcc, s34, v81
	s_and_saveexec_b64 s[30:31], vcc
	s_cbranch_execnz .LBB56_71
; %bb.49:                               ;   in Loop: Header=BB56_14 Depth=1
	s_or_b64 exec, exec, s[30:31]
	v_cmp_gt_u32_e32 vcc, s34, v82
	s_and_saveexec_b64 s[30:31], vcc
	s_cbranch_execnz .LBB56_72
.LBB56_50:                              ;   in Loop: Header=BB56_14 Depth=1
	s_or_b64 exec, exec, s[30:31]
	v_cmp_gt_u32_e32 vcc, s34, v83
	s_and_saveexec_b64 s[30:31], vcc
	s_cbranch_execnz .LBB56_73
.LBB56_51:                              ;   in Loop: Header=BB56_14 Depth=1
	s_or_b64 exec, exec, s[30:31]
	v_cmp_gt_u32_e32 vcc, s34, v84
	s_and_saveexec_b64 s[30:31], vcc
	s_cbranch_execnz .LBB56_74
.LBB56_52:                              ;   in Loop: Header=BB56_14 Depth=1
	s_or_b64 exec, exec, s[30:31]
	v_cmp_gt_u32_e32 vcc, s34, v85
	s_and_saveexec_b64 s[30:31], vcc
	s_cbranch_execnz .LBB56_75
.LBB56_53:                              ;   in Loop: Header=BB56_14 Depth=1
	s_or_b64 exec, exec, s[30:31]
	v_cmp_gt_u32_e32 vcc, s34, v86
	s_and_saveexec_b64 s[30:31], vcc
	s_cbranch_execnz .LBB56_76
.LBB56_54:                              ;   in Loop: Header=BB56_14 Depth=1
	s_or_b64 exec, exec, s[30:31]
	v_cmp_gt_u32_e32 vcc, s34, v87
	s_and_saveexec_b64 s[30:31], vcc
	s_cbranch_execnz .LBB56_77
.LBB56_55:                              ;   in Loop: Header=BB56_14 Depth=1
	s_or_b64 exec, exec, s[30:31]
	v_cmp_gt_u32_e32 vcc, s34, v88
	s_and_saveexec_b64 s[30:31], vcc
	s_cbranch_execnz .LBB56_78
.LBB56_56:                              ;   in Loop: Header=BB56_14 Depth=1
	s_or_b64 exec, exec, s[30:31]
	v_cmp_gt_u32_e32 vcc, s34, v89
	s_and_saveexec_b64 s[30:31], vcc
	s_cbranch_execnz .LBB56_79
.LBB56_57:                              ;   in Loop: Header=BB56_14 Depth=1
	s_or_b64 exec, exec, s[30:31]
	v_cmp_gt_u32_e32 vcc, s34, v90
	s_and_saveexec_b64 s[30:31], vcc
	s_cbranch_execnz .LBB56_80
.LBB56_58:                              ;   in Loop: Header=BB56_14 Depth=1
	s_or_b64 exec, exec, s[30:31]
	v_cmp_gt_u32_e32 vcc, s34, v91
	s_and_saveexec_b64 s[30:31], vcc
	s_cbranch_execnz .LBB56_81
.LBB56_59:                              ;   in Loop: Header=BB56_14 Depth=1
	s_or_b64 exec, exec, s[30:31]
	v_cmp_gt_u32_e32 vcc, s34, v92
	s_and_saveexec_b64 s[30:31], vcc
	s_cbranch_execnz .LBB56_82
.LBB56_60:                              ;   in Loop: Header=BB56_14 Depth=1
	s_or_b64 exec, exec, s[30:31]
	v_cmp_gt_u32_e32 vcc, s34, v93
	s_and_saveexec_b64 s[30:31], vcc
	s_cbranch_execnz .LBB56_83
.LBB56_61:                              ;   in Loop: Header=BB56_14 Depth=1
	s_or_b64 exec, exec, s[30:31]
	v_cmp_gt_u32_e32 vcc, s34, v94
	s_and_saveexec_b64 s[30:31], vcc
	s_cbranch_execnz .LBB56_84
.LBB56_62:                              ;   in Loop: Header=BB56_14 Depth=1
	s_or_b64 exec, exec, s[30:31]
	v_cmp_gt_u32_e32 vcc, s34, v95
	s_and_saveexec_b64 s[30:31], vcc
	s_cbranch_execz .LBB56_64
.LBB56_63:                              ;   in Loop: Header=BB56_14 Depth=1
	s_waitcnt lgkmcnt(2)
	v_add_co_u32_e32 v24, vcc, 0x1000, v0
	s_nop 1
	v_addc_co_u32_e32 v25, vcc, 0, v1, vcc
	s_waitcnt lgkmcnt(1)
	global_store_dwordx2 v[24:25], v[22:23], off offset:3072
.LBB56_64:                              ;   in Loop: Header=BB56_14 Depth=1
	s_or_b64 exec, exec, s[30:31]
	v_cmp_gt_u32_e64 s[30:31], s34, v96
	s_branch .LBB56_66
.LBB56_65:                              ;   in Loop: Header=BB56_14 Depth=1
	ds_write2_b64 v113, v[60:61], v[62:63] offset1:1
	ds_write2_b64 v113, v[56:57], v[58:59] offset0:2 offset1:3
	ds_write2_b64 v113, v[52:53], v[54:55] offset0:4 offset1:5
	;; [unrolled: 1-line block ×7, first 2 shown]
	; wave barrier
	ds_read_b64 v[4:5], v97
	ds_read_b64 v[6:7], v98
	;; [unrolled: 1-line block ×8, first 2 shown]
	s_waitcnt lgkmcnt(14)
	ds_read_b64 v[22:23], v105
	ds_read_b64 v[24:25], v106
	;; [unrolled: 1-line block ×8, first 2 shown]
	s_waitcnt lgkmcnt(14)
	global_store_dwordx2 v[0:1], v[4:5], off
	global_store_dwordx2 v[0:1], v[6:7], off offset:512
	s_waitcnt lgkmcnt(13)
	global_store_dwordx2 v[0:1], v[8:9], off offset:1024
	s_waitcnt lgkmcnt(12)
	;; [unrolled: 2-line block ×6, first 2 shown]
	global_store_dwordx2 v[0:1], v[18:19], off offset:3584
	v_add_co_u32_e32 v4, vcc, 0x1000, v0
	s_or_b64 s[30:31], s[30:31], exec
	s_nop 0
	v_addc_co_u32_e32 v5, vcc, 0, v1, vcc
	s_waitcnt lgkmcnt(7)
	global_store_dwordx2 v[4:5], v[22:23], off
	s_waitcnt lgkmcnt(6)
	global_store_dwordx2 v[4:5], v[24:25], off offset:512
	s_waitcnt lgkmcnt(5)
	global_store_dwordx2 v[4:5], v[26:27], off offset:1024
	s_waitcnt lgkmcnt(4)
	global_store_dwordx2 v[4:5], v[28:29], off offset:1536
	s_waitcnt lgkmcnt(3)
	global_store_dwordx2 v[4:5], v[30:31], off offset:2048
	s_waitcnt lgkmcnt(2)
	global_store_dwordx2 v[4:5], v[32:33], off offset:2560
	s_waitcnt lgkmcnt(1)
	global_store_dwordx2 v[4:5], v[34:35], off offset:3072
.LBB56_66:                              ;   in Loop: Header=BB56_14 Depth=1
	s_and_saveexec_b64 s[38:39], s[30:31]
	s_cbranch_execz .LBB56_68
; %bb.67:                               ;   in Loop: Header=BB56_14 Depth=1
	v_add_co_u32_e32 v0, vcc, 0x1000, v0
	s_nop 1
	v_addc_co_u32_e32 v1, vcc, 0, v1, vcc
	s_waitcnt lgkmcnt(0)
	global_store_dwordx2 v[0:1], v[20:21], off offset:3584
.LBB56_68:                              ;   in Loop: Header=BB56_14 Depth=1
	s_or_b64 exec, exec, s[38:39]
	v_mov_b64_e32 v[0:1], 0x1001
	v_cmp_lt_i64_e32 vcc, s[34:35], v[0:1]
	s_cbranch_vccz .LBB56_13
; %bb.69:
                                        ; implicit-def: $vgpr36_vgpr37
                                        ; implicit-def: $sgpr34_sgpr35
                                        ; implicit-def: $sgpr33
                                        ; implicit-def: $vgpr44_vgpr45
                                        ; implicit-def: $vgpr46_vgpr47
	s_branch .LBB56_100
.LBB56_70:                              ;   in Loop: Header=BB56_14 Depth=1
	s_mov_b64 s[30:31], 0
                                        ; implicit-def: $vgpr20_vgpr21
	s_cbranch_execnz .LBB56_65
	s_branch .LBB56_66
.LBB56_71:                              ;   in Loop: Header=BB56_14 Depth=1
	s_waitcnt lgkmcnt(14)
	global_store_dwordx2 v[0:1], v[78:79], off
	s_or_b64 exec, exec, s[30:31]
	v_cmp_gt_u32_e32 vcc, s34, v82
	s_and_saveexec_b64 s[30:31], vcc
	s_cbranch_execz .LBB56_50
.LBB56_72:                              ;   in Loop: Header=BB56_14 Depth=1
	s_waitcnt lgkmcnt(14)
	global_store_dwordx2 v[0:1], v[76:77], off offset:512
	s_or_b64 exec, exec, s[30:31]
	v_cmp_gt_u32_e32 vcc, s34, v83
	s_and_saveexec_b64 s[30:31], vcc
	s_cbranch_execz .LBB56_51
.LBB56_73:                              ;   in Loop: Header=BB56_14 Depth=1
	s_waitcnt lgkmcnt(13)
	global_store_dwordx2 v[0:1], v[74:75], off offset:1024
	s_or_b64 exec, exec, s[30:31]
	v_cmp_gt_u32_e32 vcc, s34, v84
	s_and_saveexec_b64 s[30:31], vcc
	s_cbranch_execz .LBB56_52
.LBB56_74:                              ;   in Loop: Header=BB56_14 Depth=1
	s_waitcnt lgkmcnt(12)
	global_store_dwordx2 v[0:1], v[72:73], off offset:1536
	s_or_b64 exec, exec, s[30:31]
	v_cmp_gt_u32_e32 vcc, s34, v85
	s_and_saveexec_b64 s[30:31], vcc
	s_cbranch_execz .LBB56_53
.LBB56_75:                              ;   in Loop: Header=BB56_14 Depth=1
	s_waitcnt lgkmcnt(11)
	global_store_dwordx2 v[0:1], v[70:71], off offset:2048
	s_or_b64 exec, exec, s[30:31]
	v_cmp_gt_u32_e32 vcc, s34, v86
	s_and_saveexec_b64 s[30:31], vcc
	s_cbranch_execz .LBB56_54
.LBB56_76:                              ;   in Loop: Header=BB56_14 Depth=1
	s_waitcnt lgkmcnt(10)
	global_store_dwordx2 v[0:1], v[68:69], off offset:2560
	s_or_b64 exec, exec, s[30:31]
	v_cmp_gt_u32_e32 vcc, s34, v87
	s_and_saveexec_b64 s[30:31], vcc
	s_cbranch_execz .LBB56_55
.LBB56_77:                              ;   in Loop: Header=BB56_14 Depth=1
	s_waitcnt lgkmcnt(9)
	global_store_dwordx2 v[0:1], v[66:67], off offset:3072
	s_or_b64 exec, exec, s[30:31]
	v_cmp_gt_u32_e32 vcc, s34, v88
	s_and_saveexec_b64 s[30:31], vcc
	s_cbranch_execz .LBB56_56
.LBB56_78:                              ;   in Loop: Header=BB56_14 Depth=1
	s_waitcnt lgkmcnt(8)
	global_store_dwordx2 v[0:1], v[64:65], off offset:3584
	s_or_b64 exec, exec, s[30:31]
	v_cmp_gt_u32_e32 vcc, s34, v89
	s_and_saveexec_b64 s[30:31], vcc
	s_cbranch_execz .LBB56_57
.LBB56_79:                              ;   in Loop: Header=BB56_14 Depth=1
	s_waitcnt lgkmcnt(8)
	v_add_co_u32_e32 v64, vcc, 0x1000, v0
	s_nop 1
	v_addc_co_u32_e32 v65, vcc, 0, v1, vcc
	s_waitcnt lgkmcnt(7)
	global_store_dwordx2 v[64:65], v[34:35], off
	s_or_b64 exec, exec, s[30:31]
	v_cmp_gt_u32_e32 vcc, s34, v90
	s_and_saveexec_b64 s[30:31], vcc
	s_cbranch_execz .LBB56_58
.LBB56_80:                              ;   in Loop: Header=BB56_14 Depth=1
	s_waitcnt lgkmcnt(7)
	v_add_co_u32_e32 v34, vcc, 0x1000, v0
	s_nop 1
	v_addc_co_u32_e32 v35, vcc, 0, v1, vcc
	s_waitcnt lgkmcnt(6)
	global_store_dwordx2 v[34:35], v[32:33], off offset:512
	s_or_b64 exec, exec, s[30:31]
	v_cmp_gt_u32_e32 vcc, s34, v91
	s_and_saveexec_b64 s[30:31], vcc
	s_cbranch_execz .LBB56_59
.LBB56_81:                              ;   in Loop: Header=BB56_14 Depth=1
	s_waitcnt lgkmcnt(6)
	v_add_co_u32_e32 v32, vcc, 0x1000, v0
	s_nop 1
	v_addc_co_u32_e32 v33, vcc, 0, v1, vcc
	s_waitcnt lgkmcnt(5)
	global_store_dwordx2 v[32:33], v[30:31], off offset:1024
	s_or_b64 exec, exec, s[30:31]
	v_cmp_gt_u32_e32 vcc, s34, v92
	s_and_saveexec_b64 s[30:31], vcc
	s_cbranch_execz .LBB56_60
.LBB56_82:                              ;   in Loop: Header=BB56_14 Depth=1
	s_waitcnt lgkmcnt(5)
	v_add_co_u32_e32 v30, vcc, 0x1000, v0
	s_nop 1
	v_addc_co_u32_e32 v31, vcc, 0, v1, vcc
	s_waitcnt lgkmcnt(4)
	global_store_dwordx2 v[30:31], v[28:29], off offset:1536
	s_or_b64 exec, exec, s[30:31]
	v_cmp_gt_u32_e32 vcc, s34, v93
	s_and_saveexec_b64 s[30:31], vcc
	s_cbranch_execz .LBB56_61
.LBB56_83:                              ;   in Loop: Header=BB56_14 Depth=1
	s_waitcnt lgkmcnt(4)
	v_add_co_u32_e32 v28, vcc, 0x1000, v0
	s_nop 1
	v_addc_co_u32_e32 v29, vcc, 0, v1, vcc
	s_waitcnt lgkmcnt(3)
	global_store_dwordx2 v[28:29], v[26:27], off offset:2048
	s_or_b64 exec, exec, s[30:31]
	v_cmp_gt_u32_e32 vcc, s34, v94
	s_and_saveexec_b64 s[30:31], vcc
	s_cbranch_execz .LBB56_62
.LBB56_84:                              ;   in Loop: Header=BB56_14 Depth=1
	s_waitcnt lgkmcnt(3)
	v_add_co_u32_e32 v26, vcc, 0x1000, v0
	s_nop 1
	v_addc_co_u32_e32 v27, vcc, 0, v1, vcc
	s_waitcnt lgkmcnt(2)
	global_store_dwordx2 v[26:27], v[24:25], off offset:2560
	s_or_b64 exec, exec, s[30:31]
	v_cmp_gt_u32_e32 vcc, s34, v95
	s_and_saveexec_b64 s[30:31], vcc
	s_cbranch_execnz .LBB56_63
	s_branch .LBB56_64
.LBB56_85:                              ;   in Loop: Header=BB56_14 Depth=1
	global_load_dwordx2 v[0:1], v[48:49], off
	v_mov_b32_e32 v4, v2
	v_mov_b32_e32 v5, v2
	;; [unrolled: 1-line block ×29, first 2 shown]
	s_waitcnt vmcnt(0)
	v_mov_b64_e32 v[34:35], v[30:31]
	v_mov_b64_e32 v[32:33], v[28:29]
	;; [unrolled: 1-line block ×16, first 2 shown]
	s_or_b64 exec, exec, s[38:39]
	v_cmp_gt_u32_e32 vcc, s34, v82
	s_and_saveexec_b64 s[30:31], vcc
	s_cbranch_execz .LBB56_17
.LBB56_86:                              ;   in Loop: Header=BB56_14 Depth=1
	global_load_dwordx2 v[6:7], v[48:49], off offset:512
	s_or_b64 exec, exec, s[30:31]
	v_cmp_gt_u32_e32 vcc, s34, v83
	s_and_saveexec_b64 s[30:31], vcc
	s_cbranch_execz .LBB56_18
.LBB56_87:                              ;   in Loop: Header=BB56_14 Depth=1
	global_load_dwordx2 v[8:9], v[48:49], off offset:1024
	s_or_b64 exec, exec, s[30:31]
	v_cmp_gt_u32_e32 vcc, s34, v84
	s_and_saveexec_b64 s[30:31], vcc
	s_cbranch_execz .LBB56_19
.LBB56_88:                              ;   in Loop: Header=BB56_14 Depth=1
	global_load_dwordx2 v[10:11], v[48:49], off offset:1536
	s_or_b64 exec, exec, s[30:31]
	v_cmp_gt_u32_e32 vcc, s34, v85
	s_and_saveexec_b64 s[30:31], vcc
	s_cbranch_execz .LBB56_20
.LBB56_89:                              ;   in Loop: Header=BB56_14 Depth=1
	global_load_dwordx2 v[12:13], v[48:49], off offset:2048
	s_or_b64 exec, exec, s[30:31]
	v_cmp_gt_u32_e32 vcc, s34, v86
	s_and_saveexec_b64 s[30:31], vcc
	s_cbranch_execz .LBB56_21
.LBB56_90:                              ;   in Loop: Header=BB56_14 Depth=1
	global_load_dwordx2 v[14:15], v[48:49], off offset:2560
	s_or_b64 exec, exec, s[30:31]
	v_cmp_gt_u32_e32 vcc, s34, v87
	s_and_saveexec_b64 s[30:31], vcc
	s_cbranch_execz .LBB56_22
.LBB56_91:                              ;   in Loop: Header=BB56_14 Depth=1
	global_load_dwordx2 v[16:17], v[48:49], off offset:3072
	s_or_b64 exec, exec, s[30:31]
	v_cmp_gt_u32_e32 vcc, s34, v88
	s_and_saveexec_b64 s[30:31], vcc
	s_cbranch_execz .LBB56_23
.LBB56_92:                              ;   in Loop: Header=BB56_14 Depth=1
	global_load_dwordx2 v[18:19], v[48:49], off offset:3584
	s_or_b64 exec, exec, s[30:31]
	v_cmp_gt_u32_e32 vcc, s34, v89
	s_and_saveexec_b64 s[30:31], vcc
	s_cbranch_execz .LBB56_24
.LBB56_93:                              ;   in Loop: Header=BB56_14 Depth=1
	v_add_co_u32_e32 v0, vcc, 0x1000, v48
	s_nop 1
	v_addc_co_u32_e32 v1, vcc, 0, v49, vcc
	global_load_dwordx2 v[20:21], v[0:1], off
	s_or_b64 exec, exec, s[30:31]
	v_cmp_gt_u32_e32 vcc, s34, v90
	s_and_saveexec_b64 s[30:31], vcc
	s_cbranch_execz .LBB56_25
.LBB56_94:                              ;   in Loop: Header=BB56_14 Depth=1
	v_add_co_u32_e32 v0, vcc, 0x1000, v48
	s_nop 1
	v_addc_co_u32_e32 v1, vcc, 0, v49, vcc
	global_load_dwordx2 v[22:23], v[0:1], off offset:512
	s_or_b64 exec, exec, s[30:31]
	v_cmp_gt_u32_e32 vcc, s34, v91
	s_and_saveexec_b64 s[30:31], vcc
	s_cbranch_execz .LBB56_26
.LBB56_95:                              ;   in Loop: Header=BB56_14 Depth=1
	v_add_co_u32_e32 v0, vcc, 0x1000, v48
	s_nop 1
	v_addc_co_u32_e32 v1, vcc, 0, v49, vcc
	global_load_dwordx2 v[24:25], v[0:1], off offset:1024
	s_or_b64 exec, exec, s[30:31]
	v_cmp_gt_u32_e32 vcc, s34, v92
	s_and_saveexec_b64 s[30:31], vcc
	s_cbranch_execz .LBB56_27
.LBB56_96:                              ;   in Loop: Header=BB56_14 Depth=1
	v_add_co_u32_e32 v0, vcc, 0x1000, v48
	s_nop 1
	v_addc_co_u32_e32 v1, vcc, 0, v49, vcc
	global_load_dwordx2 v[26:27], v[0:1], off offset:1536
	s_or_b64 exec, exec, s[30:31]
	v_cmp_gt_u32_e32 vcc, s34, v93
	s_and_saveexec_b64 s[30:31], vcc
	s_cbranch_execz .LBB56_28
.LBB56_97:                              ;   in Loop: Header=BB56_14 Depth=1
	v_add_co_u32_e32 v0, vcc, 0x1000, v48
	s_nop 1
	v_addc_co_u32_e32 v1, vcc, 0, v49, vcc
	global_load_dwordx2 v[28:29], v[0:1], off offset:2048
	s_or_b64 exec, exec, s[30:31]
	v_cmp_gt_u32_e32 vcc, s34, v94
	s_and_saveexec_b64 s[30:31], vcc
	s_cbranch_execz .LBB56_29
.LBB56_98:                              ;   in Loop: Header=BB56_14 Depth=1
	v_add_co_u32_e32 v0, vcc, 0x1000, v48
	s_nop 1
	v_addc_co_u32_e32 v1, vcc, 0, v49, vcc
	global_load_dwordx2 v[30:31], v[0:1], off offset:2560
	s_or_b64 exec, exec, s[30:31]
	v_cmp_gt_u32_e32 vcc, s34, v95
	s_and_saveexec_b64 s[30:31], vcc
	s_cbranch_execz .LBB56_30
.LBB56_99:                              ;   in Loop: Header=BB56_14 Depth=1
	v_add_co_u32_e32 v0, vcc, 0x1000, v48
	s_nop 1
	v_addc_co_u32_e32 v1, vcc, 0, v49, vcc
	global_load_dwordx2 v[32:33], v[0:1], off offset:3072
	s_or_b64 exec, exec, s[30:31]
	v_cmp_gt_u32_e32 vcc, s34, v96
	s_and_saveexec_b64 s[30:31], vcc
	s_cbranch_execnz .LBB56_31
	s_branch .LBB56_32
.LBB56_100:
	s_endpgm
	.section	.rodata,"a",@progbits
	.p2align	6, 0x0
	.amdhsa_kernel _ZN2at4cuda3cub17final_scan_kernelILi256ELi16EdEEvPKT1_PS3_S6_li
		.amdhsa_group_segment_fixed_size 33792
		.amdhsa_private_segment_fixed_size 0
		.amdhsa_kernarg_size 296
		.amdhsa_user_sgpr_count 2
		.amdhsa_user_sgpr_dispatch_ptr 0
		.amdhsa_user_sgpr_queue_ptr 0
		.amdhsa_user_sgpr_kernarg_segment_ptr 1
		.amdhsa_user_sgpr_dispatch_id 0
		.amdhsa_user_sgpr_kernarg_preload_length 0
		.amdhsa_user_sgpr_kernarg_preload_offset 0
		.amdhsa_user_sgpr_private_segment_size 0
		.amdhsa_uses_dynamic_stack 0
		.amdhsa_enable_private_segment 0
		.amdhsa_system_sgpr_workgroup_id_x 1
		.amdhsa_system_sgpr_workgroup_id_y 0
		.amdhsa_system_sgpr_workgroup_id_z 0
		.amdhsa_system_sgpr_workgroup_info 0
		.amdhsa_system_vgpr_workitem_id 0
		.amdhsa_next_free_vgpr 117
		.amdhsa_next_free_sgpr 70
		.amdhsa_accum_offset 120
		.amdhsa_reserve_vcc 1
		.amdhsa_float_round_mode_32 0
		.amdhsa_float_round_mode_16_64 0
		.amdhsa_float_denorm_mode_32 3
		.amdhsa_float_denorm_mode_16_64 3
		.amdhsa_dx10_clamp 1
		.amdhsa_ieee_mode 1
		.amdhsa_fp16_overflow 0
		.amdhsa_tg_split 0
		.amdhsa_exception_fp_ieee_invalid_op 0
		.amdhsa_exception_fp_denorm_src 0
		.amdhsa_exception_fp_ieee_div_zero 0
		.amdhsa_exception_fp_ieee_overflow 0
		.amdhsa_exception_fp_ieee_underflow 0
		.amdhsa_exception_fp_ieee_inexact 0
		.amdhsa_exception_int_div_zero 0
	.end_amdhsa_kernel
	.section	.text._ZN2at4cuda3cub17final_scan_kernelILi256ELi16EdEEvPKT1_PS3_S6_li,"axG",@progbits,_ZN2at4cuda3cub17final_scan_kernelILi256ELi16EdEEvPKT1_PS3_S6_li,comdat
.Lfunc_end56:
	.size	_ZN2at4cuda3cub17final_scan_kernelILi256ELi16EdEEvPKT1_PS3_S6_li, .Lfunc_end56-_ZN2at4cuda3cub17final_scan_kernelILi256ELi16EdEEvPKT1_PS3_S6_li
                                        ; -- End function
	.section	.AMDGPU.csdata,"",@progbits
; Kernel info:
; codeLenInByte = 5340
; NumSgprs: 76
; NumVgprs: 117
; NumAgprs: 0
; TotalNumVgprs: 117
; ScratchSize: 0
; MemoryBound: 1
; FloatMode: 240
; IeeeMode: 1
; LDSByteSize: 33792 bytes/workgroup (compile time only)
; SGPRBlocks: 9
; VGPRBlocks: 14
; NumSGPRsForWavesPerEU: 76
; NumVGPRsForWavesPerEU: 117
; AccumOffset: 120
; Occupancy: 4
; WaveLimiterHint : 1
; COMPUTE_PGM_RSRC2:SCRATCH_EN: 0
; COMPUTE_PGM_RSRC2:USER_SGPR: 2
; COMPUTE_PGM_RSRC2:TRAP_HANDLER: 0
; COMPUTE_PGM_RSRC2:TGID_X_EN: 1
; COMPUTE_PGM_RSRC2:TGID_Y_EN: 0
; COMPUTE_PGM_RSRC2:TGID_Z_EN: 0
; COMPUTE_PGM_RSRC2:TIDIG_COMP_CNT: 0
; COMPUTE_PGM_RSRC3_GFX90A:ACCUM_OFFSET: 29
; COMPUTE_PGM_RSRC3_GFX90A:TG_SPLIT: 0
	.section	.text._ZN7rocprim17ROCPRIM_304000_NS6detail31init_lookback_scan_state_kernelINS1_19lookback_scan_stateIdLb1ELb1EEEEEvT_jjPNS5_10value_typeE,"axG",@progbits,_ZN7rocprim17ROCPRIM_304000_NS6detail31init_lookback_scan_state_kernelINS1_19lookback_scan_stateIdLb1ELb1EEEEEvT_jjPNS5_10value_typeE,comdat
	.protected	_ZN7rocprim17ROCPRIM_304000_NS6detail31init_lookback_scan_state_kernelINS1_19lookback_scan_stateIdLb1ELb1EEEEEvT_jjPNS5_10value_typeE ; -- Begin function _ZN7rocprim17ROCPRIM_304000_NS6detail31init_lookback_scan_state_kernelINS1_19lookback_scan_stateIdLb1ELb1EEEEEvT_jjPNS5_10value_typeE
	.globl	_ZN7rocprim17ROCPRIM_304000_NS6detail31init_lookback_scan_state_kernelINS1_19lookback_scan_stateIdLb1ELb1EEEEEvT_jjPNS5_10value_typeE
	.p2align	8
	.type	_ZN7rocprim17ROCPRIM_304000_NS6detail31init_lookback_scan_state_kernelINS1_19lookback_scan_stateIdLb1ELb1EEEEEvT_jjPNS5_10value_typeE,@function
_ZN7rocprim17ROCPRIM_304000_NS6detail31init_lookback_scan_state_kernelINS1_19lookback_scan_stateIdLb1ELb1EEEEEvT_jjPNS5_10value_typeE: ; @_ZN7rocprim17ROCPRIM_304000_NS6detail31init_lookback_scan_state_kernelINS1_19lookback_scan_stateIdLb1ELb1EEEEEvT_jjPNS5_10value_typeE
; %bb.0:
	s_load_dword s3, s[0:1], 0x24
	s_load_dwordx2 s[8:9], s[0:1], 0x10
	s_load_dwordx4 s[4:7], s[0:1], 0x0
	s_waitcnt lgkmcnt(0)
	s_and_b32 s0, s3, 0xffff
	s_mul_i32 s2, s2, s0
	s_cmp_eq_u64 s[8:9], 0
	v_add_u32_e32 v0, s2, v0
	s_cbranch_scc1 .LBB57_10
; %bb.1:
	s_cmp_lt_u32 s7, s6
	s_cselect_b32 s0, s7, 0
	s_mov_b32 s3, 0
	v_cmp_eq_u32_e32 vcc, s0, v0
	s_and_saveexec_b64 s[0:1], vcc
	s_cbranch_execz .LBB57_9
; %bb.2:
	s_add_i32 s2, s7, 64
	s_lshl_b64 s[2:3], s[2:3], 4
	s_add_u32 s12, s4, s2
	s_addc_u32 s13, s5, s3
	v_mov_b64_e32 v[2:3], s[12:13]
	;;#ASMSTART
	global_load_dwordx4 v[2:5], v[2:3] off sc1	
s_waitcnt vmcnt(0)
	;;#ASMEND
	v_mov_b32_e32 v7, 0
	v_and_b32_e32 v6, 0xff, v4
	s_mov_b64 s[10:11], 0
	v_cmp_eq_u64_e32 vcc, 0, v[6:7]
	s_and_saveexec_b64 s[2:3], vcc
	s_cbranch_execz .LBB57_8
; %bb.3:
	s_mov_b32 s7, 1
	v_mov_b64_e32 v[8:9], s[12:13]
.LBB57_4:                               ; =>This Loop Header: Depth=1
                                        ;     Child Loop BB57_5 Depth 2
	s_max_u32 s12, s7, 1
.LBB57_5:                               ;   Parent Loop BB57_4 Depth=1
                                        ; =>  This Inner Loop Header: Depth=2
	s_add_i32 s12, s12, -1
	s_cmp_eq_u32 s12, 0
	s_sleep 1
	s_cbranch_scc0 .LBB57_5
; %bb.6:                                ;   in Loop: Header=BB57_4 Depth=1
	s_cmp_lt_u32 s7, 32
	s_cselect_b64 s[12:13], -1, 0
	s_cmp_lg_u64 s[12:13], 0
	;;#ASMSTART
	global_load_dwordx4 v[2:5], v[8:9] off sc1	
s_waitcnt vmcnt(0)
	;;#ASMEND
	s_addc_u32 s7, s7, 0
	v_and_b32_e32 v6, 0xff, v4
	v_cmp_ne_u64_e32 vcc, 0, v[6:7]
	s_or_b64 s[10:11], vcc, s[10:11]
	s_andn2_b64 exec, exec, s[10:11]
	s_cbranch_execnz .LBB57_4
; %bb.7:
	s_or_b64 exec, exec, s[10:11]
.LBB57_8:
	s_or_b64 exec, exec, s[2:3]
	v_mov_b32_e32 v1, 0
	global_store_dwordx2 v1, v[2:3], s[8:9]
.LBB57_9:
	s_or_b64 exec, exec, s[0:1]
.LBB57_10:
	v_cmp_gt_u32_e32 vcc, s6, v0
	s_and_saveexec_b64 s[0:1], vcc
	s_cbranch_execnz .LBB57_13
; %bb.11:
	s_or_b64 exec, exec, s[0:1]
	v_cmp_gt_u32_e32 vcc, 64, v0
	s_and_saveexec_b64 s[0:1], vcc
	s_cbranch_execnz .LBB57_14
.LBB57_12:
	s_endpgm
.LBB57_13:
	v_add_u32_e32 v2, 64, v0
	v_mov_b32_e32 v3, 0
	v_lshl_add_u64 v[6:7], v[2:3], 4, s[4:5]
	v_mov_b32_e32 v2, v3
	v_mov_b32_e32 v4, v3
	;; [unrolled: 1-line block ×3, first 2 shown]
	global_store_dwordx4 v[6:7], v[2:5], off
	s_or_b64 exec, exec, s[0:1]
	v_cmp_gt_u32_e32 vcc, 64, v0
	s_and_saveexec_b64 s[0:1], vcc
	s_cbranch_execz .LBB57_12
.LBB57_14:
	v_mov_b32_e32 v1, 0
	v_lshl_add_u64 v[4:5], v[0:1], 4, s[4:5]
	v_mov_b32_e32 v2, 0xff
	v_mov_b32_e32 v0, v1
	;; [unrolled: 1-line block ×3, first 2 shown]
	global_store_dwordx4 v[4:5], v[0:3], off
	s_endpgm
	.section	.rodata,"a",@progbits
	.p2align	6, 0x0
	.amdhsa_kernel _ZN7rocprim17ROCPRIM_304000_NS6detail31init_lookback_scan_state_kernelINS1_19lookback_scan_stateIdLb1ELb1EEEEEvT_jjPNS5_10value_typeE
		.amdhsa_group_segment_fixed_size 0
		.amdhsa_private_segment_fixed_size 0
		.amdhsa_kernarg_size 280
		.amdhsa_user_sgpr_count 2
		.amdhsa_user_sgpr_dispatch_ptr 0
		.amdhsa_user_sgpr_queue_ptr 0
		.amdhsa_user_sgpr_kernarg_segment_ptr 1
		.amdhsa_user_sgpr_dispatch_id 0
		.amdhsa_user_sgpr_kernarg_preload_length 0
		.amdhsa_user_sgpr_kernarg_preload_offset 0
		.amdhsa_user_sgpr_private_segment_size 0
		.amdhsa_uses_dynamic_stack 0
		.amdhsa_enable_private_segment 0
		.amdhsa_system_sgpr_workgroup_id_x 1
		.amdhsa_system_sgpr_workgroup_id_y 0
		.amdhsa_system_sgpr_workgroup_id_z 0
		.amdhsa_system_sgpr_workgroup_info 0
		.amdhsa_system_vgpr_workitem_id 0
		.amdhsa_next_free_vgpr 10
		.amdhsa_next_free_sgpr 14
		.amdhsa_accum_offset 12
		.amdhsa_reserve_vcc 1
		.amdhsa_float_round_mode_32 0
		.amdhsa_float_round_mode_16_64 0
		.amdhsa_float_denorm_mode_32 3
		.amdhsa_float_denorm_mode_16_64 3
		.amdhsa_dx10_clamp 1
		.amdhsa_ieee_mode 1
		.amdhsa_fp16_overflow 0
		.amdhsa_tg_split 0
		.amdhsa_exception_fp_ieee_invalid_op 0
		.amdhsa_exception_fp_denorm_src 0
		.amdhsa_exception_fp_ieee_div_zero 0
		.amdhsa_exception_fp_ieee_overflow 0
		.amdhsa_exception_fp_ieee_underflow 0
		.amdhsa_exception_fp_ieee_inexact 0
		.amdhsa_exception_int_div_zero 0
	.end_amdhsa_kernel
	.section	.text._ZN7rocprim17ROCPRIM_304000_NS6detail31init_lookback_scan_state_kernelINS1_19lookback_scan_stateIdLb1ELb1EEEEEvT_jjPNS5_10value_typeE,"axG",@progbits,_ZN7rocprim17ROCPRIM_304000_NS6detail31init_lookback_scan_state_kernelINS1_19lookback_scan_stateIdLb1ELb1EEEEEvT_jjPNS5_10value_typeE,comdat
.Lfunc_end57:
	.size	_ZN7rocprim17ROCPRIM_304000_NS6detail31init_lookback_scan_state_kernelINS1_19lookback_scan_stateIdLb1ELb1EEEEEvT_jjPNS5_10value_typeE, .Lfunc_end57-_ZN7rocprim17ROCPRIM_304000_NS6detail31init_lookback_scan_state_kernelINS1_19lookback_scan_stateIdLb1ELb1EEEEEvT_jjPNS5_10value_typeE
                                        ; -- End function
	.section	.AMDGPU.csdata,"",@progbits
; Kernel info:
; codeLenInByte = 372
; NumSgprs: 20
; NumVgprs: 10
; NumAgprs: 0
; TotalNumVgprs: 10
; ScratchSize: 0
; MemoryBound: 0
; FloatMode: 240
; IeeeMode: 1
; LDSByteSize: 0 bytes/workgroup (compile time only)
; SGPRBlocks: 2
; VGPRBlocks: 1
; NumSGPRsForWavesPerEU: 20
; NumVGPRsForWavesPerEU: 10
; AccumOffset: 12
; Occupancy: 8
; WaveLimiterHint : 0
; COMPUTE_PGM_RSRC2:SCRATCH_EN: 0
; COMPUTE_PGM_RSRC2:USER_SGPR: 2
; COMPUTE_PGM_RSRC2:TRAP_HANDLER: 0
; COMPUTE_PGM_RSRC2:TGID_X_EN: 1
; COMPUTE_PGM_RSRC2:TGID_Y_EN: 0
; COMPUTE_PGM_RSRC2:TGID_Z_EN: 0
; COMPUTE_PGM_RSRC2:TIDIG_COMP_CNT: 0
; COMPUTE_PGM_RSRC3_GFX90A:ACCUM_OFFSET: 2
; COMPUTE_PGM_RSRC3_GFX90A:TG_SPLIT: 0
	.section	.text._ZN7rocprim17ROCPRIM_304000_NS6detail31init_lookback_scan_state_kernelINS1_19lookback_scan_stateIdLb0ELb1EEEEEvT_jjPNS5_10value_typeE,"axG",@progbits,_ZN7rocprim17ROCPRIM_304000_NS6detail31init_lookback_scan_state_kernelINS1_19lookback_scan_stateIdLb0ELb1EEEEEvT_jjPNS5_10value_typeE,comdat
	.protected	_ZN7rocprim17ROCPRIM_304000_NS6detail31init_lookback_scan_state_kernelINS1_19lookback_scan_stateIdLb0ELb1EEEEEvT_jjPNS5_10value_typeE ; -- Begin function _ZN7rocprim17ROCPRIM_304000_NS6detail31init_lookback_scan_state_kernelINS1_19lookback_scan_stateIdLb0ELb1EEEEEvT_jjPNS5_10value_typeE
	.globl	_ZN7rocprim17ROCPRIM_304000_NS6detail31init_lookback_scan_state_kernelINS1_19lookback_scan_stateIdLb0ELb1EEEEEvT_jjPNS5_10value_typeE
	.p2align	8
	.type	_ZN7rocprim17ROCPRIM_304000_NS6detail31init_lookback_scan_state_kernelINS1_19lookback_scan_stateIdLb0ELb1EEEEEvT_jjPNS5_10value_typeE,@function
_ZN7rocprim17ROCPRIM_304000_NS6detail31init_lookback_scan_state_kernelINS1_19lookback_scan_stateIdLb0ELb1EEEEEvT_jjPNS5_10value_typeE: ; @_ZN7rocprim17ROCPRIM_304000_NS6detail31init_lookback_scan_state_kernelINS1_19lookback_scan_stateIdLb0ELb1EEEEEvT_jjPNS5_10value_typeE
; %bb.0:
	s_load_dword s3, s[0:1], 0x24
	s_load_dwordx2 s[8:9], s[0:1], 0x10
	s_load_dwordx4 s[4:7], s[0:1], 0x0
	s_waitcnt lgkmcnt(0)
	s_and_b32 s0, s3, 0xffff
	s_mul_i32 s2, s2, s0
	s_cmp_eq_u64 s[8:9], 0
	v_add_u32_e32 v0, s2, v0
	s_cbranch_scc1 .LBB58_8
; %bb.1:
	s_cmp_lt_u32 s7, s6
	s_cselect_b32 s0, s7, 0
	s_mov_b32 s3, 0
	v_cmp_eq_u32_e32 vcc, s0, v0
	s_and_saveexec_b64 s[0:1], vcc
	s_cbranch_execz .LBB58_7
; %bb.2:
	s_add_i32 s2, s7, 64
	s_lshl_b64 s[2:3], s[2:3], 4
	s_add_u32 s12, s4, s2
	s_addc_u32 s13, s5, s3
	v_mov_b64_e32 v[2:3], s[12:13]
	;;#ASMSTART
	global_load_dwordx4 v[2:5], v[2:3] off sc1	
s_waitcnt vmcnt(0)
	;;#ASMEND
	v_mov_b32_e32 v7, 0
	v_and_b32_e32 v6, 0xff, v4
	s_mov_b64 s[10:11], 0
	v_cmp_eq_u64_e32 vcc, 0, v[6:7]
	s_and_saveexec_b64 s[2:3], vcc
	s_cbranch_execz .LBB58_6
; %bb.3:
	v_mov_b64_e32 v[8:9], s[12:13]
.LBB58_4:                               ; =>This Inner Loop Header: Depth=1
	;;#ASMSTART
	global_load_dwordx4 v[2:5], v[8:9] off sc1	
s_waitcnt vmcnt(0)
	;;#ASMEND
	s_nop 0
	v_and_b32_e32 v6, 0xff, v4
	v_cmp_ne_u64_e32 vcc, 0, v[6:7]
	s_or_b64 s[10:11], vcc, s[10:11]
	s_andn2_b64 exec, exec, s[10:11]
	s_cbranch_execnz .LBB58_4
; %bb.5:
	s_or_b64 exec, exec, s[10:11]
.LBB58_6:
	s_or_b64 exec, exec, s[2:3]
	v_mov_b32_e32 v1, 0
	global_store_dwordx2 v1, v[2:3], s[8:9]
.LBB58_7:
	s_or_b64 exec, exec, s[0:1]
.LBB58_8:
	v_cmp_gt_u32_e32 vcc, s6, v0
	s_and_saveexec_b64 s[0:1], vcc
	s_cbranch_execnz .LBB58_11
; %bb.9:
	s_or_b64 exec, exec, s[0:1]
	v_cmp_gt_u32_e32 vcc, 64, v0
	s_and_saveexec_b64 s[0:1], vcc
	s_cbranch_execnz .LBB58_12
.LBB58_10:
	s_endpgm
.LBB58_11:
	v_add_u32_e32 v2, 64, v0
	v_mov_b32_e32 v3, 0
	v_lshl_add_u64 v[6:7], v[2:3], 4, s[4:5]
	v_mov_b32_e32 v2, v3
	v_mov_b32_e32 v4, v3
	;; [unrolled: 1-line block ×3, first 2 shown]
	global_store_dwordx4 v[6:7], v[2:5], off
	s_or_b64 exec, exec, s[0:1]
	v_cmp_gt_u32_e32 vcc, 64, v0
	s_and_saveexec_b64 s[0:1], vcc
	s_cbranch_execz .LBB58_10
.LBB58_12:
	v_mov_b32_e32 v1, 0
	v_lshl_add_u64 v[4:5], v[0:1], 4, s[4:5]
	v_mov_b32_e32 v2, 0xff
	v_mov_b32_e32 v0, v1
	;; [unrolled: 1-line block ×3, first 2 shown]
	global_store_dwordx4 v[4:5], v[0:3], off
	s_endpgm
	.section	.rodata,"a",@progbits
	.p2align	6, 0x0
	.amdhsa_kernel _ZN7rocprim17ROCPRIM_304000_NS6detail31init_lookback_scan_state_kernelINS1_19lookback_scan_stateIdLb0ELb1EEEEEvT_jjPNS5_10value_typeE
		.amdhsa_group_segment_fixed_size 0
		.amdhsa_private_segment_fixed_size 0
		.amdhsa_kernarg_size 280
		.amdhsa_user_sgpr_count 2
		.amdhsa_user_sgpr_dispatch_ptr 0
		.amdhsa_user_sgpr_queue_ptr 0
		.amdhsa_user_sgpr_kernarg_segment_ptr 1
		.amdhsa_user_sgpr_dispatch_id 0
		.amdhsa_user_sgpr_kernarg_preload_length 0
		.amdhsa_user_sgpr_kernarg_preload_offset 0
		.amdhsa_user_sgpr_private_segment_size 0
		.amdhsa_uses_dynamic_stack 0
		.amdhsa_enable_private_segment 0
		.amdhsa_system_sgpr_workgroup_id_x 1
		.amdhsa_system_sgpr_workgroup_id_y 0
		.amdhsa_system_sgpr_workgroup_id_z 0
		.amdhsa_system_sgpr_workgroup_info 0
		.amdhsa_system_vgpr_workitem_id 0
		.amdhsa_next_free_vgpr 10
		.amdhsa_next_free_sgpr 14
		.amdhsa_accum_offset 12
		.amdhsa_reserve_vcc 1
		.amdhsa_float_round_mode_32 0
		.amdhsa_float_round_mode_16_64 0
		.amdhsa_float_denorm_mode_32 3
		.amdhsa_float_denorm_mode_16_64 3
		.amdhsa_dx10_clamp 1
		.amdhsa_ieee_mode 1
		.amdhsa_fp16_overflow 0
		.amdhsa_tg_split 0
		.amdhsa_exception_fp_ieee_invalid_op 0
		.amdhsa_exception_fp_denorm_src 0
		.amdhsa_exception_fp_ieee_div_zero 0
		.amdhsa_exception_fp_ieee_overflow 0
		.amdhsa_exception_fp_ieee_underflow 0
		.amdhsa_exception_fp_ieee_inexact 0
		.amdhsa_exception_int_div_zero 0
	.end_amdhsa_kernel
	.section	.text._ZN7rocprim17ROCPRIM_304000_NS6detail31init_lookback_scan_state_kernelINS1_19lookback_scan_stateIdLb0ELb1EEEEEvT_jjPNS5_10value_typeE,"axG",@progbits,_ZN7rocprim17ROCPRIM_304000_NS6detail31init_lookback_scan_state_kernelINS1_19lookback_scan_stateIdLb0ELb1EEEEEvT_jjPNS5_10value_typeE,comdat
.Lfunc_end58:
	.size	_ZN7rocprim17ROCPRIM_304000_NS6detail31init_lookback_scan_state_kernelINS1_19lookback_scan_stateIdLb0ELb1EEEEEvT_jjPNS5_10value_typeE, .Lfunc_end58-_ZN7rocprim17ROCPRIM_304000_NS6detail31init_lookback_scan_state_kernelINS1_19lookback_scan_stateIdLb0ELb1EEEEEvT_jjPNS5_10value_typeE
                                        ; -- End function
	.section	.AMDGPU.csdata,"",@progbits
; Kernel info:
; codeLenInByte = 336
; NumSgprs: 20
; NumVgprs: 10
; NumAgprs: 0
; TotalNumVgprs: 10
; ScratchSize: 0
; MemoryBound: 0
; FloatMode: 240
; IeeeMode: 1
; LDSByteSize: 0 bytes/workgroup (compile time only)
; SGPRBlocks: 2
; VGPRBlocks: 1
; NumSGPRsForWavesPerEU: 20
; NumVGPRsForWavesPerEU: 10
; AccumOffset: 12
; Occupancy: 8
; WaveLimiterHint : 0
; COMPUTE_PGM_RSRC2:SCRATCH_EN: 0
; COMPUTE_PGM_RSRC2:USER_SGPR: 2
; COMPUTE_PGM_RSRC2:TRAP_HANDLER: 0
; COMPUTE_PGM_RSRC2:TGID_X_EN: 1
; COMPUTE_PGM_RSRC2:TGID_Y_EN: 0
; COMPUTE_PGM_RSRC2:TGID_Z_EN: 0
; COMPUTE_PGM_RSRC2:TIDIG_COMP_CNT: 0
; COMPUTE_PGM_RSRC3_GFX90A:ACCUM_OFFSET: 2
; COMPUTE_PGM_RSRC3_GFX90A:TG_SPLIT: 0
	.section	.text._ZN7rocprim17ROCPRIM_304000_NS6detail20lookback_scan_kernelILNS1_25lookback_scan_determinismE0ELb0ENS1_19wrapped_scan_configINS0_14default_configEdEEPKdPdSt4plusIdEddNS1_19lookback_scan_stateIdLb1ELb1EEEEEvT2_T3_mT5_T4_T7_jPT6_SK_bb,"axG",@progbits,_ZN7rocprim17ROCPRIM_304000_NS6detail20lookback_scan_kernelILNS1_25lookback_scan_determinismE0ELb0ENS1_19wrapped_scan_configINS0_14default_configEdEEPKdPdSt4plusIdEddNS1_19lookback_scan_stateIdLb1ELb1EEEEEvT2_T3_mT5_T4_T7_jPT6_SK_bb,comdat
	.protected	_ZN7rocprim17ROCPRIM_304000_NS6detail20lookback_scan_kernelILNS1_25lookback_scan_determinismE0ELb0ENS1_19wrapped_scan_configINS0_14default_configEdEEPKdPdSt4plusIdEddNS1_19lookback_scan_stateIdLb1ELb1EEEEEvT2_T3_mT5_T4_T7_jPT6_SK_bb ; -- Begin function _ZN7rocprim17ROCPRIM_304000_NS6detail20lookback_scan_kernelILNS1_25lookback_scan_determinismE0ELb0ENS1_19wrapped_scan_configINS0_14default_configEdEEPKdPdSt4plusIdEddNS1_19lookback_scan_stateIdLb1ELb1EEEEEvT2_T3_mT5_T4_T7_jPT6_SK_bb
	.globl	_ZN7rocprim17ROCPRIM_304000_NS6detail20lookback_scan_kernelILNS1_25lookback_scan_determinismE0ELb0ENS1_19wrapped_scan_configINS0_14default_configEdEEPKdPdSt4plusIdEddNS1_19lookback_scan_stateIdLb1ELb1EEEEEvT2_T3_mT5_T4_T7_jPT6_SK_bb
	.p2align	8
	.type	_ZN7rocprim17ROCPRIM_304000_NS6detail20lookback_scan_kernelILNS1_25lookback_scan_determinismE0ELb0ENS1_19wrapped_scan_configINS0_14default_configEdEEPKdPdSt4plusIdEddNS1_19lookback_scan_stateIdLb1ELb1EEEEEvT2_T3_mT5_T4_T7_jPT6_SK_bb,@function
_ZN7rocprim17ROCPRIM_304000_NS6detail20lookback_scan_kernelILNS1_25lookback_scan_determinismE0ELb0ENS1_19wrapped_scan_configINS0_14default_configEdEEPKdPdSt4plusIdEddNS1_19lookback_scan_stateIdLb1ELb1EEEEEvT2_T3_mT5_T4_T7_jPT6_SK_bb: ; @_ZN7rocprim17ROCPRIM_304000_NS6detail20lookback_scan_kernelILNS1_25lookback_scan_determinismE0ELb0ENS1_19wrapped_scan_configINS0_14default_configEdEEPKdPdSt4plusIdEddNS1_19lookback_scan_stateIdLb1ELb1EEEEEvT2_T3_mT5_T4_T7_jPT6_SK_bb
; %bb.0:
	s_endpgm
	.section	.rodata,"a",@progbits
	.p2align	6, 0x0
	.amdhsa_kernel _ZN7rocprim17ROCPRIM_304000_NS6detail20lookback_scan_kernelILNS1_25lookback_scan_determinismE0ELb0ENS1_19wrapped_scan_configINS0_14default_configEdEEPKdPdSt4plusIdEddNS1_19lookback_scan_stateIdLb1ELb1EEEEEvT2_T3_mT5_T4_T7_jPT6_SK_bb
		.amdhsa_group_segment_fixed_size 0
		.amdhsa_private_segment_fixed_size 0
		.amdhsa_kernarg_size 76
		.amdhsa_user_sgpr_count 2
		.amdhsa_user_sgpr_dispatch_ptr 0
		.amdhsa_user_sgpr_queue_ptr 0
		.amdhsa_user_sgpr_kernarg_segment_ptr 1
		.amdhsa_user_sgpr_dispatch_id 0
		.amdhsa_user_sgpr_kernarg_preload_length 0
		.amdhsa_user_sgpr_kernarg_preload_offset 0
		.amdhsa_user_sgpr_private_segment_size 0
		.amdhsa_uses_dynamic_stack 0
		.amdhsa_enable_private_segment 0
		.amdhsa_system_sgpr_workgroup_id_x 1
		.amdhsa_system_sgpr_workgroup_id_y 0
		.amdhsa_system_sgpr_workgroup_id_z 0
		.amdhsa_system_sgpr_workgroup_info 0
		.amdhsa_system_vgpr_workitem_id 0
		.amdhsa_next_free_vgpr 1
		.amdhsa_next_free_sgpr 0
		.amdhsa_accum_offset 4
		.amdhsa_reserve_vcc 0
		.amdhsa_float_round_mode_32 0
		.amdhsa_float_round_mode_16_64 0
		.amdhsa_float_denorm_mode_32 3
		.amdhsa_float_denorm_mode_16_64 3
		.amdhsa_dx10_clamp 1
		.amdhsa_ieee_mode 1
		.amdhsa_fp16_overflow 0
		.amdhsa_tg_split 0
		.amdhsa_exception_fp_ieee_invalid_op 0
		.amdhsa_exception_fp_denorm_src 0
		.amdhsa_exception_fp_ieee_div_zero 0
		.amdhsa_exception_fp_ieee_overflow 0
		.amdhsa_exception_fp_ieee_underflow 0
		.amdhsa_exception_fp_ieee_inexact 0
		.amdhsa_exception_int_div_zero 0
	.end_amdhsa_kernel
	.section	.text._ZN7rocprim17ROCPRIM_304000_NS6detail20lookback_scan_kernelILNS1_25lookback_scan_determinismE0ELb0ENS1_19wrapped_scan_configINS0_14default_configEdEEPKdPdSt4plusIdEddNS1_19lookback_scan_stateIdLb1ELb1EEEEEvT2_T3_mT5_T4_T7_jPT6_SK_bb,"axG",@progbits,_ZN7rocprim17ROCPRIM_304000_NS6detail20lookback_scan_kernelILNS1_25lookback_scan_determinismE0ELb0ENS1_19wrapped_scan_configINS0_14default_configEdEEPKdPdSt4plusIdEddNS1_19lookback_scan_stateIdLb1ELb1EEEEEvT2_T3_mT5_T4_T7_jPT6_SK_bb,comdat
.Lfunc_end59:
	.size	_ZN7rocprim17ROCPRIM_304000_NS6detail20lookback_scan_kernelILNS1_25lookback_scan_determinismE0ELb0ENS1_19wrapped_scan_configINS0_14default_configEdEEPKdPdSt4plusIdEddNS1_19lookback_scan_stateIdLb1ELb1EEEEEvT2_T3_mT5_T4_T7_jPT6_SK_bb, .Lfunc_end59-_ZN7rocprim17ROCPRIM_304000_NS6detail20lookback_scan_kernelILNS1_25lookback_scan_determinismE0ELb0ENS1_19wrapped_scan_configINS0_14default_configEdEEPKdPdSt4plusIdEddNS1_19lookback_scan_stateIdLb1ELb1EEEEEvT2_T3_mT5_T4_T7_jPT6_SK_bb
                                        ; -- End function
	.section	.AMDGPU.csdata,"",@progbits
; Kernel info:
; codeLenInByte = 4
; NumSgprs: 6
; NumVgprs: 0
; NumAgprs: 0
; TotalNumVgprs: 0
; ScratchSize: 0
; MemoryBound: 0
; FloatMode: 240
; IeeeMode: 1
; LDSByteSize: 0 bytes/workgroup (compile time only)
; SGPRBlocks: 0
; VGPRBlocks: 0
; NumSGPRsForWavesPerEU: 6
; NumVGPRsForWavesPerEU: 1
; AccumOffset: 4
; Occupancy: 8
; WaveLimiterHint : 0
; COMPUTE_PGM_RSRC2:SCRATCH_EN: 0
; COMPUTE_PGM_RSRC2:USER_SGPR: 2
; COMPUTE_PGM_RSRC2:TRAP_HANDLER: 0
; COMPUTE_PGM_RSRC2:TGID_X_EN: 1
; COMPUTE_PGM_RSRC2:TGID_Y_EN: 0
; COMPUTE_PGM_RSRC2:TGID_Z_EN: 0
; COMPUTE_PGM_RSRC2:TIDIG_COMP_CNT: 0
; COMPUTE_PGM_RSRC3_GFX90A:ACCUM_OFFSET: 0
; COMPUTE_PGM_RSRC3_GFX90A:TG_SPLIT: 0
	.section	.text._ZN7rocprim17ROCPRIM_304000_NS6detail20lookback_scan_kernelILNS1_25lookback_scan_determinismE0ELb0ENS1_19wrapped_scan_configINS0_14default_configEdEEPKdPdSt4plusIdEddNS1_19lookback_scan_stateIdLb0ELb1EEEEEvT2_T3_mT5_T4_T7_jPT6_SK_bb,"axG",@progbits,_ZN7rocprim17ROCPRIM_304000_NS6detail20lookback_scan_kernelILNS1_25lookback_scan_determinismE0ELb0ENS1_19wrapped_scan_configINS0_14default_configEdEEPKdPdSt4plusIdEddNS1_19lookback_scan_stateIdLb0ELb1EEEEEvT2_T3_mT5_T4_T7_jPT6_SK_bb,comdat
	.protected	_ZN7rocprim17ROCPRIM_304000_NS6detail20lookback_scan_kernelILNS1_25lookback_scan_determinismE0ELb0ENS1_19wrapped_scan_configINS0_14default_configEdEEPKdPdSt4plusIdEddNS1_19lookback_scan_stateIdLb0ELb1EEEEEvT2_T3_mT5_T4_T7_jPT6_SK_bb ; -- Begin function _ZN7rocprim17ROCPRIM_304000_NS6detail20lookback_scan_kernelILNS1_25lookback_scan_determinismE0ELb0ENS1_19wrapped_scan_configINS0_14default_configEdEEPKdPdSt4plusIdEddNS1_19lookback_scan_stateIdLb0ELb1EEEEEvT2_T3_mT5_T4_T7_jPT6_SK_bb
	.globl	_ZN7rocprim17ROCPRIM_304000_NS6detail20lookback_scan_kernelILNS1_25lookback_scan_determinismE0ELb0ENS1_19wrapped_scan_configINS0_14default_configEdEEPKdPdSt4plusIdEddNS1_19lookback_scan_stateIdLb0ELb1EEEEEvT2_T3_mT5_T4_T7_jPT6_SK_bb
	.p2align	8
	.type	_ZN7rocprim17ROCPRIM_304000_NS6detail20lookback_scan_kernelILNS1_25lookback_scan_determinismE0ELb0ENS1_19wrapped_scan_configINS0_14default_configEdEEPKdPdSt4plusIdEddNS1_19lookback_scan_stateIdLb0ELb1EEEEEvT2_T3_mT5_T4_T7_jPT6_SK_bb,@function
_ZN7rocprim17ROCPRIM_304000_NS6detail20lookback_scan_kernelILNS1_25lookback_scan_determinismE0ELb0ENS1_19wrapped_scan_configINS0_14default_configEdEEPKdPdSt4plusIdEddNS1_19lookback_scan_stateIdLb0ELb1EEEEEvT2_T3_mT5_T4_T7_jPT6_SK_bb: ; @_ZN7rocprim17ROCPRIM_304000_NS6detail20lookback_scan_kernelILNS1_25lookback_scan_determinismE0ELb0ENS1_19wrapped_scan_configINS0_14default_configEdEEPKdPdSt4plusIdEddNS1_19lookback_scan_stateIdLb0ELb1EEEEEvT2_T3_mT5_T4_T7_jPT6_SK_bb
; %bb.0:
	s_load_dword s3, s[0:1], 0x30
	s_load_dwordx4 s[8:11], s[0:1], 0x0
	s_load_dwordx2 s[4:5], s[0:1], 0x10
	s_mul_i32 s6, s2, 0xf00
	s_mov_b32 s7, 0
	s_waitcnt lgkmcnt(0)
	s_add_i32 s3, s3, -1
	s_mul_i32 s12, s3, 0xf00
	s_sub_u32 s22, s4, s12
	s_subb_u32 s23, s5, 0
	s_cmp_lg_u32 s2, s3
	s_cselect_b64 s[12:13], -1, 0
	s_lshl_b64 s[14:15], s[6:7], 3
	s_add_u32 s6, s8, s14
	s_addc_u32 s7, s9, s15
	s_mov_b64 s[4:5], -1
	s_and_b64 vcc, exec, s[12:13]
	v_lshlrev_b32_e32 v62, 3, v0
	s_cbranch_vccz .LBB60_2
; %bb.1:
	v_mov_b32_e32 v63, 0
	v_lshl_add_u64 v[2:3], s[6:7], 0, v[62:63]
	v_add_co_u32_e32 v8, vcc, 0x1000, v2
	global_load_dwordx2 v[4:5], v62, s[6:7]
	global_load_dwordx2 v[6:7], v62, s[6:7] offset:2048
	v_addc_co_u32_e32 v9, vcc, 0, v3, vcc
	v_add_co_u32_e32 v10, vcc, 0x2000, v2
	s_mov_b64 s[4:5], 0
	s_nop 0
	v_addc_co_u32_e32 v11, vcc, 0, v3, vcc
	global_load_dwordx2 v[12:13], v[8:9], off
	global_load_dwordx2 v[14:15], v[8:9], off offset:2048
	global_load_dwordx2 v[16:17], v[10:11], off
	global_load_dwordx2 v[18:19], v[10:11], off offset:2048
	v_add_co_u32_e32 v8, vcc, 0x3000, v2
	s_nop 1
	v_addc_co_u32_e32 v9, vcc, 0, v3, vcc
	v_add_co_u32_e32 v10, vcc, 0x4000, v2
	s_nop 1
	v_addc_co_u32_e32 v11, vcc, 0, v3, vcc
	global_load_dwordx2 v[20:21], v[8:9], off
	global_load_dwordx2 v[22:23], v[8:9], off offset:2048
	global_load_dwordx2 v[24:25], v[10:11], off
	global_load_dwordx2 v[26:27], v[10:11], off offset:2048
	v_add_co_u32_e32 v8, vcc, 0x5000, v2
	s_nop 1
	v_addc_co_u32_e32 v9, vcc, 0, v3, vcc
	v_add_co_u32_e32 v10, vcc, 0x6000, v2
	s_nop 1
	v_addc_co_u32_e32 v11, vcc, 0, v3, vcc
	global_load_dwordx2 v[28:29], v[8:9], off
	global_load_dwordx2 v[30:31], v[8:9], off offset:2048
	global_load_dwordx2 v[32:33], v[10:11], off
	global_load_dwordx2 v[34:35], v[10:11], off offset:2048
	v_add_co_u32_e32 v2, vcc, 0x7000, v2
	s_nop 1
	v_addc_co_u32_e32 v3, vcc, 0, v3, vcc
	global_load_dwordx2 v[2:3], v[2:3], off
	s_waitcnt vmcnt(13)
	ds_write2st64_b64 v62, v[4:5], v[6:7] offset1:4
	s_waitcnt vmcnt(11)
	ds_write2st64_b64 v62, v[12:13], v[14:15] offset0:8 offset1:12
	s_waitcnt vmcnt(9)
	ds_write2st64_b64 v62, v[16:17], v[18:19] offset0:16 offset1:20
	;; [unrolled: 2-line block ×6, first 2 shown]
	s_waitcnt vmcnt(0)
	ds_write_b64 v62, v[2:3] offset:28672
	s_waitcnt lgkmcnt(0)
	s_barrier
.LBB60_2:
	s_andn2_b64 vcc, exec, s[4:5]
	v_cmp_gt_u32_e64 s[4:5], s22, v0
	s_cbranch_vccnz .LBB60_34
; %bb.3:
	s_load_dwordx2 s[36:37], s[6:7], 0x0
	v_mov_b32_e32 v63, 0
	v_lshl_add_u64 v[34:35], s[6:7], 0, v[62:63]
	s_waitcnt lgkmcnt(0)
	s_mov_b32 s38, s36
	s_mov_b32 s39, s37
	;; [unrolled: 1-line block ×28, first 2 shown]
	v_mov_b64_e32 v[2:3], s[36:37]
	v_mov_b64_e32 v[4:5], s[38:39]
	v_mov_b64_e32 v[6:7], s[40:41]
	v_mov_b64_e32 v[8:9], s[42:43]
	v_mov_b64_e32 v[10:11], s[44:45]
	v_mov_b64_e32 v[12:13], s[46:47]
	v_mov_b64_e32 v[14:15], s[48:49]
	v_mov_b64_e32 v[16:17], s[50:51]
	v_mov_b64_e32 v[18:19], s[52:53]
	v_mov_b64_e32 v[20:21], s[54:55]
	v_mov_b64_e32 v[22:23], s[56:57]
	v_mov_b64_e32 v[24:25], s[58:59]
	v_mov_b64_e32 v[26:27], s[60:61]
	v_mov_b64_e32 v[28:29], s[62:63]
	v_mov_b64_e32 v[30:31], s[64:65]
	v_mov_b64_e32 v[32:33], s[66:67]
	s_and_saveexec_b64 s[6:7], s[4:5]
	s_cbranch_execz .LBB60_5
; %bb.4:
	global_load_dwordx2 v[2:3], v[34:35], off
	v_mov_b32_e32 v4, s36
	v_mov_b32_e32 v5, s37
	;; [unrolled: 1-line block ×28, first 2 shown]
.LBB60_5:
	s_or_b64 exec, exec, s[6:7]
	v_or_b32_e32 v1, 0x100, v0
	v_cmp_gt_u32_e32 vcc, s22, v1
	s_and_saveexec_b64 s[4:5], vcc
	s_cbranch_execz .LBB60_7
; %bb.6:
	global_load_dwordx2 v[4:5], v[34:35], off offset:2048
.LBB60_7:
	s_or_b64 exec, exec, s[4:5]
	v_or_b32_e32 v1, 0x200, v0
	v_cmp_gt_u32_e32 vcc, s22, v1
	s_and_saveexec_b64 s[4:5], vcc
	s_cbranch_execz .LBB60_9
; %bb.8:
	v_add_co_u32_e32 v6, vcc, 0x1000, v34
	s_nop 1
	v_addc_co_u32_e32 v7, vcc, 0, v35, vcc
	global_load_dwordx2 v[6:7], v[6:7], off
.LBB60_9:
	s_or_b64 exec, exec, s[4:5]
	v_or_b32_e32 v1, 0x300, v0
	v_cmp_gt_u32_e32 vcc, s22, v1
	s_and_saveexec_b64 s[4:5], vcc
	s_cbranch_execz .LBB60_11
; %bb.10:
	v_add_co_u32_e32 v8, vcc, 0x1000, v34
	s_nop 1
	v_addc_co_u32_e32 v9, vcc, 0, v35, vcc
	global_load_dwordx2 v[8:9], v[8:9], off offset:2048
.LBB60_11:
	s_or_b64 exec, exec, s[4:5]
	v_or_b32_e32 v1, 0x400, v0
	v_cmp_gt_u32_e32 vcc, s22, v1
	s_and_saveexec_b64 s[4:5], vcc
	s_cbranch_execz .LBB60_13
; %bb.12:
	v_add_co_u32_e32 v10, vcc, 0x2000, v34
	s_nop 1
	v_addc_co_u32_e32 v11, vcc, 0, v35, vcc
	global_load_dwordx2 v[10:11], v[10:11], off
.LBB60_13:
	s_or_b64 exec, exec, s[4:5]
	v_or_b32_e32 v1, 0x500, v0
	v_cmp_gt_u32_e32 vcc, s22, v1
	s_and_saveexec_b64 s[4:5], vcc
	s_cbranch_execz .LBB60_15
; %bb.14:
	v_add_co_u32_e32 v12, vcc, 0x2000, v34
	s_nop 1
	v_addc_co_u32_e32 v13, vcc, 0, v35, vcc
	global_load_dwordx2 v[12:13], v[12:13], off offset:2048
.LBB60_15:
	;; [unrolled: 22-line block ×6, first 2 shown]
	s_or_b64 exec, exec, s[4:5]
	v_or_b32_e32 v1, 0xe00, v0
	v_cmp_gt_u32_e32 vcc, s22, v1
	s_and_saveexec_b64 s[4:5], vcc
	s_cbranch_execz .LBB60_33
; %bb.32:
	v_add_co_u32_e32 v30, vcc, 0x7000, v34
	s_nop 1
	v_addc_co_u32_e32 v31, vcc, 0, v35, vcc
	global_load_dwordx2 v[30:31], v[30:31], off
.LBB60_33:
	s_or_b64 exec, exec, s[4:5]
	s_waitcnt vmcnt(0)
	ds_write2st64_b64 v62, v[2:3], v[4:5] offset1:4
	ds_write2st64_b64 v62, v[6:7], v[8:9] offset0:8 offset1:12
	ds_write2st64_b64 v62, v[10:11], v[12:13] offset0:16 offset1:20
	;; [unrolled: 1-line block ×6, first 2 shown]
	ds_write_b64 v62, v[30:31] offset:28672
	s_waitcnt lgkmcnt(0)
	s_barrier
.LBB60_34:
	v_mul_u32_u24_e32 v66, 15, v0
	v_lshlrev_b32_e32 v1, 3, v66
	ds_read2_b64 v[34:37], v1 offset1:1
	ds_read2_b64 v[38:41], v1 offset0:2 offset1:3
	ds_read2_b64 v[42:45], v1 offset0:4 offset1:5
	;; [unrolled: 1-line block ×6, first 2 shown]
	ds_read_b64 v[64:65], v1 offset:112
	s_load_dwordx2 s[16:17], s[0:1], 0x28
	s_cmp_lg_u32 s2, 0
	v_lshrrev_b32_e32 v63, 5, v0
	v_cmp_gt_u32_e32 vcc, 64, v0
	s_waitcnt lgkmcnt(0)
	s_barrier
	s_cbranch_scc0 .LBB60_59
; %bb.35:
	v_add_f64 v[2:3], v[34:35], v[36:37]
	v_add_f64 v[2:3], v[38:39], v[2:3]
	;; [unrolled: 1-line block ×14, first 2 shown]
	v_add_lshl_u32 v2, v63, v0, 3
	ds_write_b64 v2, v[10:11]
	s_waitcnt lgkmcnt(0)
	s_barrier
	s_and_saveexec_b64 s[6:7], vcc
	s_cbranch_execz .LBB60_37
; %bb.36:
	v_lshlrev_b32_e32 v2, 2, v0
	v_lshrrev_b32_e32 v3, 3, v0
	v_add_lshl_u32 v16, v3, v2, 3
	ds_read2_b64 v[2:5], v16 offset1:1
	ds_read2_b64 v[6:9], v16 offset0:2 offset1:3
	v_mbcnt_lo_u32_b32 v12, -1, 0
	v_mbcnt_hi_u32_b32 v17, -1, v12
	v_and_b32_e32 v18, 15, v17
	s_waitcnt lgkmcnt(1)
	v_add_f64 v[12:13], v[2:3], v[4:5]
	s_waitcnt lgkmcnt(0)
	v_add_f64 v[12:13], v[12:13], v[6:7]
	v_add_f64 v[12:13], v[12:13], v[8:9]
	v_cmp_eq_u32_e64 s[4:5], 0, v18
	s_nop 0
	v_mov_b32_dpp v14, v12 row_shr:1 row_mask:0xf bank_mask:0xf
	v_mov_b32_dpp v15, v13 row_shr:1 row_mask:0xf bank_mask:0xf
	v_add_f64 v[14:15], v[12:13], v[14:15]
	v_cndmask_b32_e64 v13, v15, v13, s[4:5]
	v_cndmask_b32_e64 v12, v14, v12, s[4:5]
	v_cmp_lt_u32_e64 s[4:5], 1, v18
	v_mov_b32_dpp v15, v13 row_shr:2 row_mask:0xf bank_mask:0xf
	v_mov_b32_dpp v14, v12 row_shr:2 row_mask:0xf bank_mask:0xf
	v_add_f64 v[14:15], v[12:13], v[14:15]
	v_cndmask_b32_e64 v12, v12, v14, s[4:5]
	v_cndmask_b32_e64 v13, v13, v15, s[4:5]
	v_cmp_lt_u32_e64 s[4:5], 3, v18
	;; [unrolled: 6-line block ×3, first 2 shown]
	v_mov_b32_dpp v14, v12 row_shr:8 row_mask:0xf bank_mask:0xf
	v_mov_b32_dpp v15, v13 row_shr:8 row_mask:0xf bank_mask:0xf
	v_add_f64 v[14:15], v[12:13], v[14:15]
	v_cndmask_b32_e64 v12, v12, v14, s[4:5]
	v_cndmask_b32_e64 v13, v13, v15, s[4:5]
	v_and_b32_e32 v18, 16, v17
	v_mov_b32_dpp v14, v12 row_bcast:15 row_mask:0xf bank_mask:0xf
	v_mov_b32_dpp v15, v13 row_bcast:15 row_mask:0xf bank_mask:0xf
	v_add_f64 v[14:15], v[12:13], v[14:15]
	v_cmp_eq_u32_e64 s[4:5], 0, v18
	s_nop 1
	v_cndmask_b32_e64 v13, v15, v13, s[4:5]
	v_cndmask_b32_e64 v12, v14, v12, s[4:5]
	v_cmp_lt_u32_e64 s[4:5], 31, v17
	v_mov_b32_dpp v15, v13 row_bcast:31 row_mask:0xf bank_mask:0xf
	v_mov_b32_dpp v14, v12 row_bcast:31 row_mask:0xf bank_mask:0xf
	v_add_f64 v[14:15], v[12:13], v[14:15]
	v_cndmask_b32_e64 v13, v13, v15, s[4:5]
	v_cndmask_b32_e64 v12, v12, v14, s[4:5]
	v_add_u32_e32 v14, -1, v17
	v_and_b32_e32 v15, 64, v17
	v_cmp_lt_i32_e64 s[4:5], v14, v15
	s_nop 1
	v_cndmask_b32_e64 v14, v14, v17, s[4:5]
	v_lshlrev_b32_e32 v14, 2, v14
	ds_bpermute_b32 v12, v14, v12
	ds_bpermute_b32 v13, v14, v13
	v_cmp_eq_u32_e64 s[4:5], 0, v0
	s_waitcnt lgkmcnt(0)
	v_add_f64 v[2:3], v[2:3], v[12:13]
	v_cndmask_b32_e64 v3, v3, v11, s[4:5]
	v_cndmask_b32_e64 v2, v2, v10, s[4:5]
	v_add_f64 v[4:5], v[4:5], v[2:3]
	ds_write2_b64 v16, v[2:3], v[4:5] offset1:1
	v_add_f64 v[2:3], v[6:7], v[4:5]
	v_add_f64 v[4:5], v[8:9], v[2:3]
	ds_write2_b64 v16, v[2:3], v[4:5] offset0:2 offset1:3
.LBB60_37:
	s_or_b64 exec, exec, s[6:7]
	v_cmp_eq_u32_e64 s[6:7], 0, v0
	v_cmp_ne_u32_e64 s[4:5], 0, v0
	s_waitcnt lgkmcnt(0)
	s_barrier
	s_and_saveexec_b64 s[8:9], s[4:5]
	s_cbranch_execz .LBB60_39
; %bb.38:
	v_add_u32_e32 v2, -1, v0
	v_lshrrev_b32_e32 v3, 5, v2
	v_add_lshl_u32 v2, v3, v2, 3
	ds_read_b64 v[10:11], v2
.LBB60_39:
	s_or_b64 exec, exec, s[8:9]
	s_and_saveexec_b64 s[18:19], vcc
	s_cbranch_execz .LBB60_58
; %bb.40:
	v_mov_b32_e32 v5, 0
	ds_read_b64 v[2:3], v5 offset:2096
	v_mbcnt_lo_u32_b32 v4, -1, 0
	v_mbcnt_hi_u32_b32 v13, -1, v4
	s_mov_b32 s21, 0
	v_cmp_eq_u32_e64 s[4:5], 0, v13
	s_and_saveexec_b64 s[8:9], s[4:5]
	s_cbranch_execz .LBB60_42
; %bb.41:
	s_add_i32 s20, s2, 64
	s_lshl_b64 s[20:21], s[20:21], 4
	s_add_u32 s20, s16, s20
	s_addc_u32 s21, s17, s21
	v_mov_b32_e32 v4, 1
	v_mov_b64_e32 v[6:7], s[20:21]
	s_waitcnt lgkmcnt(0)
	;;#ASMSTART
	global_store_dwordx4 v[6:7], v[2:5] off sc1	
s_waitcnt vmcnt(0)
	;;#ASMEND
.LBB60_42:
	s_or_b64 exec, exec, s[8:9]
	v_xad_u32 v12, v13, -1, s2
	v_add_u32_e32 v4, 64, v12
	v_lshl_add_u64 v[14:15], v[4:5], 4, s[16:17]
	;;#ASMSTART
	global_load_dwordx4 v[6:9], v[14:15] off sc1	
s_waitcnt vmcnt(0)
	;;#ASMEND
	s_nop 0
	v_cmp_eq_u16_sdwa s[20:21], v8, v5 src0_sel:BYTE_0 src1_sel:DWORD
	s_and_saveexec_b64 s[8:9], s[20:21]
	s_cbranch_execz .LBB60_46
; %bb.43:
	s_mov_b64 s[20:21], 0
	v_mov_b32_e32 v4, 0
.LBB60_44:                              ; =>This Inner Loop Header: Depth=1
	;;#ASMSTART
	global_load_dwordx4 v[6:9], v[14:15] off sc1	
s_waitcnt vmcnt(0)
	;;#ASMEND
	s_nop 0
	v_cmp_ne_u16_sdwa s[24:25], v8, v4 src0_sel:BYTE_0 src1_sel:DWORD
	s_or_b64 s[20:21], s[24:25], s[20:21]
	s_andn2_b64 exec, exec, s[20:21]
	s_cbranch_execnz .LBB60_44
; %bb.45:
	s_or_b64 exec, exec, s[20:21]
.LBB60_46:
	s_or_b64 exec, exec, s[8:9]
	v_and_b32_e32 v17, 63, v13
	v_cmp_ne_u32_e32 vcc, 63, v17
	v_mov_b32_e32 v18, 2
	v_cmp_eq_u16_sdwa s[8:9], v8, v18 src0_sel:BYTE_0 src1_sel:DWORD
	v_addc_co_u32_e32 v14, vcc, 0, v13, vcc
	v_lshlrev_b64 v[4:5], v13, -1
	v_lshlrev_b32_e32 v19, 2, v14
	v_and_b32_e32 v9, s9, v5
	ds_bpermute_b32 v14, v19, v6
	ds_bpermute_b32 v15, v19, v7
	v_or_b32_e32 v9, 0x80000000, v9
	v_and_b32_e32 v16, s8, v4
	v_ffbl_b32_e32 v9, v9
	v_add_u32_e32 v9, 32, v9
	v_ffbl_b32_e32 v16, v16
	v_min_u32_e32 v9, v16, v9
	v_add_u32_e32 v20, 1, v13
	s_waitcnt lgkmcnt(0)
	v_add_f64 v[14:15], v[6:7], v[14:15]
	v_cmp_gt_u32_e32 vcc, v20, v9
	v_add_u32_e32 v22, 2, v13
	v_add_u32_e32 v24, 4, v13
	v_cndmask_b32_e32 v6, v14, v6, vcc
	v_cndmask_b32_e32 v7, v15, v7, vcc
	v_cmp_gt_u32_e32 vcc, 62, v17
	v_add_u32_e32 v26, 8, v13
	v_add_u32_e32 v28, 16, v13
	v_cndmask_b32_e64 v14, 0, 1, vcc
	v_lshlrev_b32_e32 v14, 1, v14
	v_add_lshl_u32 v21, v14, v13, 2
	ds_bpermute_b32 v14, v21, v6
	ds_bpermute_b32 v15, v21, v7
	v_cmp_gt_u32_e32 vcc, v22, v9
	v_cmp_gt_u32_e64 s[8:9], 32, v17
	v_add_u32_e32 v30, 32, v13
	s_waitcnt lgkmcnt(0)
	v_add_f64 v[14:15], v[6:7], v[14:15]
	v_cndmask_b32_e32 v6, v14, v6, vcc
	v_cndmask_b32_e32 v7, v15, v7, vcc
	v_cmp_gt_u32_e32 vcc, 60, v17
	s_nop 1
	v_cndmask_b32_e64 v14, 0, 1, vcc
	v_lshlrev_b32_e32 v14, 2, v14
	v_add_lshl_u32 v23, v14, v13, 2
	ds_bpermute_b32 v14, v23, v6
	ds_bpermute_b32 v15, v23, v7
	v_cmp_gt_u32_e32 vcc, v24, v9
	s_waitcnt lgkmcnt(0)
	v_add_f64 v[14:15], v[6:7], v[14:15]
	v_cndmask_b32_e32 v6, v14, v6, vcc
	v_cndmask_b32_e32 v7, v15, v7, vcc
	v_cmp_gt_u32_e32 vcc, 56, v17
	s_nop 1
	v_cndmask_b32_e64 v14, 0, 1, vcc
	v_lshlrev_b32_e32 v14, 3, v14
	v_add_lshl_u32 v25, v14, v13, 2
	ds_bpermute_b32 v14, v25, v6
	ds_bpermute_b32 v15, v25, v7
	v_cmp_gt_u32_e32 vcc, v26, v9
	;; [unrolled: 12-line block ×3, first 2 shown]
	s_waitcnt lgkmcnt(0)
	v_add_f64 v[14:15], v[6:7], v[14:15]
	v_cndmask_b32_e32 v6, v14, v6, vcc
	v_cndmask_b32_e64 v14, 0, 1, s[8:9]
	v_lshlrev_b32_e32 v14, 5, v14
	v_add_lshl_u32 v29, v14, v13, 2
	v_cndmask_b32_e32 v7, v15, v7, vcc
	ds_bpermute_b32 v14, v29, v6
	ds_bpermute_b32 v15, v29, v7
	v_cmp_gt_u32_e32 vcc, v30, v9
	v_mov_b32_e32 v13, 0
	s_waitcnt lgkmcnt(0)
	v_add_f64 v[14:15], v[6:7], v[14:15]
	v_cndmask_b32_e32 v7, v15, v7, vcc
	v_cndmask_b32_e32 v6, v14, v6, vcc
	s_branch .LBB60_48
.LBB60_47:                              ;   in Loop: Header=BB60_48 Depth=1
	s_or_b64 exec, exec, s[8:9]
	v_cmp_eq_u16_sdwa s[8:9], v8, v18 src0_sel:BYTE_0 src1_sel:DWORD
	ds_bpermute_b32 v16, v19, v6
	ds_bpermute_b32 v17, v19, v7
	v_and_b32_e32 v9, s9, v5
	v_or_b32_e32 v9, 0x80000000, v9
	v_and_b32_e32 v31, s8, v4
	v_ffbl_b32_e32 v9, v9
	v_add_u32_e32 v9, 32, v9
	v_ffbl_b32_e32 v31, v31
	v_min_u32_e32 v9, v31, v9
	s_waitcnt lgkmcnt(0)
	v_add_f64 v[16:17], v[6:7], v[16:17]
	v_cmp_gt_u32_e32 vcc, v20, v9
	v_subrev_u32_e32 v12, 64, v12
	s_nop 0
	v_cndmask_b32_e32 v6, v16, v6, vcc
	v_cndmask_b32_e32 v7, v17, v7, vcc
	ds_bpermute_b32 v16, v21, v6
	ds_bpermute_b32 v17, v21, v7
	v_cmp_gt_u32_e32 vcc, v22, v9
	s_waitcnt lgkmcnt(0)
	v_add_f64 v[16:17], v[6:7], v[16:17]
	v_cndmask_b32_e32 v6, v16, v6, vcc
	v_cndmask_b32_e32 v7, v17, v7, vcc
	ds_bpermute_b32 v16, v23, v6
	ds_bpermute_b32 v17, v23, v7
	v_cmp_gt_u32_e32 vcc, v24, v9
	s_waitcnt lgkmcnt(0)
	v_add_f64 v[16:17], v[6:7], v[16:17]
	;; [unrolled: 7-line block ×5, first 2 shown]
	v_cndmask_b32_e32 v7, v17, v7, vcc
	v_cndmask_b32_e32 v6, v16, v6, vcc
	v_add_f64 v[6:7], v[14:15], v[6:7]
.LBB60_48:                              ; =>This Loop Header: Depth=1
                                        ;     Child Loop BB60_51 Depth 2
	v_cmp_ne_u16_sdwa s[8:9], v8, v18 src0_sel:BYTE_0 src1_sel:DWORD
	v_mov_b64_e32 v[14:15], v[6:7]
	s_nop 0
	v_cndmask_b32_e64 v8, 0, 1, s[8:9]
	;;#ASMSTART
	;;#ASMEND
	s_nop 0
	v_cmp_ne_u32_e32 vcc, 0, v8
	s_cmp_lg_u64 vcc, exec
	s_cbranch_scc1 .LBB60_53
; %bb.49:                               ;   in Loop: Header=BB60_48 Depth=1
	v_lshl_add_u64 v[16:17], v[12:13], 4, s[16:17]
	;;#ASMSTART
	global_load_dwordx4 v[6:9], v[16:17] off sc1	
s_waitcnt vmcnt(0)
	;;#ASMEND
	s_nop 0
	v_cmp_eq_u16_sdwa s[20:21], v8, v13 src0_sel:BYTE_0 src1_sel:DWORD
	s_and_saveexec_b64 s[8:9], s[20:21]
	s_cbranch_execz .LBB60_47
; %bb.50:                               ;   in Loop: Header=BB60_48 Depth=1
	s_mov_b64 s[20:21], 0
.LBB60_51:                              ;   Parent Loop BB60_48 Depth=1
                                        ; =>  This Inner Loop Header: Depth=2
	;;#ASMSTART
	global_load_dwordx4 v[6:9], v[16:17] off sc1	
s_waitcnt vmcnt(0)
	;;#ASMEND
	s_nop 0
	v_cmp_ne_u16_sdwa s[24:25], v8, v13 src0_sel:BYTE_0 src1_sel:DWORD
	s_or_b64 s[20:21], s[24:25], s[20:21]
	s_andn2_b64 exec, exec, s[20:21]
	s_cbranch_execnz .LBB60_51
; %bb.52:                               ;   in Loop: Header=BB60_48 Depth=1
	s_or_b64 exec, exec, s[20:21]
	s_branch .LBB60_47
.LBB60_53:                              ;   in Loop: Header=BB60_48 Depth=1
                                        ; implicit-def: $vgpr6_vgpr7
                                        ; implicit-def: $vgpr8
	s_cbranch_execz .LBB60_48
; %bb.54:
	s_and_saveexec_b64 s[8:9], s[4:5]
	s_cbranch_execz .LBB60_56
; %bb.55:
	s_add_i32 s2, s2, 64
	s_mov_b32 s3, 0
	s_lshl_b64 s[2:3], s[2:3], 4
	s_add_u32 s2, s16, s2
	s_addc_u32 s3, s17, s3
	v_add_f64 v[2:3], v[2:3], v[14:15]
	v_mov_b32_e32 v4, 2
	v_mov_b32_e32 v5, 0
	v_mov_b64_e32 v[6:7], s[2:3]
	;;#ASMSTART
	global_store_dwordx4 v[6:7], v[2:5] off sc1	
s_waitcnt vmcnt(0)
	;;#ASMEND
.LBB60_56:
	s_or_b64 exec, exec, s[8:9]
	s_and_b64 exec, exec, s[6:7]
	s_cbranch_execz .LBB60_58
; %bb.57:
	v_mov_b32_e32 v2, 0
	ds_write_b64 v2, v[14:15]
.LBB60_58:
	s_or_b64 exec, exec, s[18:19]
	v_mov_b32_e32 v2, 0
	s_waitcnt lgkmcnt(0)
	s_barrier
	ds_read_b64 v[2:3], v2
	v_add_f64 v[4:5], v[34:35], v[10:11]
	v_cndmask_b32_e64 v5, v5, v35, s[6:7]
	v_cndmask_b32_e64 v4, v4, v34, s[6:7]
	s_waitcnt lgkmcnt(0)
	v_add_f64 v[2:3], v[4:5], v[2:3]
	v_add_f64 v[4:5], v[36:37], v[2:3]
	;; [unrolled: 1-line block ×15, first 2 shown]
	s_load_dwordx4 s[4:7], s[0:1], 0x38
	s_branch .LBB60_69
.LBB60_59:
                                        ; implicit-def: $vgpr2_vgpr3_vgpr4_vgpr5_vgpr6_vgpr7_vgpr8_vgpr9_vgpr10_vgpr11_vgpr12_vgpr13_vgpr14_vgpr15_vgpr16_vgpr17_vgpr18_vgpr19_vgpr20_vgpr21_vgpr22_vgpr23_vgpr24_vgpr25_vgpr26_vgpr27_vgpr28_vgpr29_vgpr30_vgpr31_vgpr32_vgpr33
	s_load_dwordx4 s[4:7], s[0:1], 0x38
	s_cbranch_execz .LBB60_69
; %bb.60:
	s_load_dword s8, s[0:1], 0x48
	v_cmp_eq_u32_e32 vcc, 0, v0
	v_cmp_ne_u32_e64 s[2:3], 0, v0
	s_waitcnt lgkmcnt(0)
	s_bitcmp1_b32 s8, 0
	s_cselect_b64 s[8:9], -1, 0
	s_and_b64 s[18:19], vcc, s[8:9]
	s_and_saveexec_b64 s[8:9], s[18:19]
	s_cbranch_execz .LBB60_62
; %bb.61:
	s_load_dwordx2 s[4:5], s[4:5], 0x0
	s_waitcnt lgkmcnt(0)
	v_add_f64 v[34:35], v[34:35], s[4:5]
.LBB60_62:
	s_or_b64 exec, exec, s[8:9]
	v_add_f64 v[2:3], v[34:35], v[36:37]
	v_add_f64 v[2:3], v[38:39], v[2:3]
	;; [unrolled: 1-line block ×14, first 2 shown]
	v_add_lshl_u32 v4, v63, v0, 3
	v_cmp_gt_u32_e64 s[4:5], 64, v0
	ds_write_b64 v4, v[2:3]
	s_waitcnt lgkmcnt(0)
	s_barrier
	s_and_saveexec_b64 s[8:9], s[4:5]
	s_cbranch_execz .LBB60_64
; %bb.63:
	v_lshlrev_b32_e32 v4, 2, v0
	v_lshrrev_b32_e32 v5, 3, v0
	v_add_lshl_u32 v16, v5, v4, 3
	ds_read2_b64 v[4:7], v16 offset1:1
	ds_read2_b64 v[8:11], v16 offset0:2 offset1:3
	v_mbcnt_lo_u32_b32 v12, -1, 0
	v_mbcnt_hi_u32_b32 v17, -1, v12
	v_and_b32_e32 v18, 15, v17
	s_waitcnt lgkmcnt(1)
	v_add_f64 v[12:13], v[4:5], v[6:7]
	s_waitcnt lgkmcnt(0)
	v_add_f64 v[12:13], v[12:13], v[8:9]
	v_add_f64 v[12:13], v[12:13], v[10:11]
	v_cmp_eq_u32_e64 s[4:5], 0, v18
	s_nop 0
	v_mov_b32_dpp v14, v12 row_shr:1 row_mask:0xf bank_mask:0xf
	v_mov_b32_dpp v15, v13 row_shr:1 row_mask:0xf bank_mask:0xf
	v_add_f64 v[14:15], v[12:13], v[14:15]
	v_cndmask_b32_e64 v13, v15, v13, s[4:5]
	v_cndmask_b32_e64 v12, v14, v12, s[4:5]
	v_cmp_lt_u32_e64 s[4:5], 1, v18
	v_mov_b32_dpp v15, v13 row_shr:2 row_mask:0xf bank_mask:0xf
	v_mov_b32_dpp v14, v12 row_shr:2 row_mask:0xf bank_mask:0xf
	v_add_f64 v[14:15], v[12:13], v[14:15]
	v_cndmask_b32_e64 v12, v12, v14, s[4:5]
	v_cndmask_b32_e64 v13, v13, v15, s[4:5]
	v_cmp_lt_u32_e64 s[4:5], 3, v18
	;; [unrolled: 6-line block ×3, first 2 shown]
	v_mov_b32_dpp v14, v12 row_shr:8 row_mask:0xf bank_mask:0xf
	v_mov_b32_dpp v15, v13 row_shr:8 row_mask:0xf bank_mask:0xf
	v_add_f64 v[14:15], v[12:13], v[14:15]
	v_cndmask_b32_e64 v12, v12, v14, s[4:5]
	v_cndmask_b32_e64 v13, v13, v15, s[4:5]
	v_and_b32_e32 v18, 16, v17
	v_mov_b32_dpp v14, v12 row_bcast:15 row_mask:0xf bank_mask:0xf
	v_mov_b32_dpp v15, v13 row_bcast:15 row_mask:0xf bank_mask:0xf
	v_add_f64 v[14:15], v[12:13], v[14:15]
	v_cmp_eq_u32_e64 s[4:5], 0, v18
	s_nop 1
	v_cndmask_b32_e64 v13, v15, v13, s[4:5]
	v_cndmask_b32_e64 v12, v14, v12, s[4:5]
	v_cmp_lt_u32_e64 s[4:5], 31, v17
	v_mov_b32_dpp v15, v13 row_bcast:31 row_mask:0xf bank_mask:0xf
	v_mov_b32_dpp v14, v12 row_bcast:31 row_mask:0xf bank_mask:0xf
	v_add_f64 v[14:15], v[12:13], v[14:15]
	v_cndmask_b32_e64 v13, v13, v15, s[4:5]
	v_cndmask_b32_e64 v12, v12, v14, s[4:5]
	v_add_u32_e32 v14, -1, v17
	v_and_b32_e32 v15, 64, v17
	v_cmp_lt_i32_e64 s[4:5], v14, v15
	s_nop 1
	v_cndmask_b32_e64 v14, v14, v17, s[4:5]
	v_lshlrev_b32_e32 v14, 2, v14
	ds_bpermute_b32 v12, v14, v12
	ds_bpermute_b32 v13, v14, v13
	s_waitcnt lgkmcnt(0)
	v_add_f64 v[4:5], v[4:5], v[12:13]
	v_cndmask_b32_e32 v5, v5, v3, vcc
	v_cndmask_b32_e32 v4, v4, v2, vcc
	v_add_f64 v[6:7], v[6:7], v[4:5]
	ds_write2_b64 v16, v[4:5], v[6:7] offset1:1
	v_add_f64 v[4:5], v[8:9], v[6:7]
	v_add_f64 v[6:7], v[10:11], v[4:5]
	ds_write2_b64 v16, v[4:5], v[6:7] offset0:2 offset1:3
.LBB60_64:
	s_or_b64 exec, exec, s[8:9]
	s_waitcnt lgkmcnt(0)
	s_barrier
	s_and_saveexec_b64 s[4:5], s[2:3]
	s_cbranch_execz .LBB60_66
; %bb.65:
	v_add_u32_e32 v2, -1, v0
	v_lshrrev_b32_e32 v3, 5, v2
	v_add_lshl_u32 v2, v3, v2, 3
	ds_read_b64 v[2:3], v2
.LBB60_66:
	s_or_b64 exec, exec, s[4:5]
	s_waitcnt lgkmcnt(0)
	v_add_f64 v[2:3], v[34:35], v[2:3]
	v_cndmask_b32_e32 v3, v3, v35, vcc
	v_cndmask_b32_e32 v2, v2, v34, vcc
	v_add_f64 v[4:5], v[36:37], v[2:3]
	v_add_f64 v[6:7], v[38:39], v[4:5]
	;; [unrolled: 1-line block ×14, first 2 shown]
	s_and_saveexec_b64 s[2:3], vcc
	s_cbranch_execz .LBB60_68
; %bb.67:
	s_add_u32 s4, s16, 0x400
	v_mov_b32_e32 v35, 0
	s_addc_u32 s5, s17, 0
	ds_read_b64 v[32:33], v35 offset:2096
	v_mov_b32_e32 v34, 2
	v_mov_b64_e32 v[36:37], s[4:5]
	s_waitcnt lgkmcnt(0)
	;;#ASMSTART
	global_store_dwordx4 v[36:37], v[32:35] off sc1	
s_waitcnt vmcnt(0)
	;;#ASMEND
.LBB60_68:
	s_or_b64 exec, exec, s[2:3]
.LBB60_69:
	s_add_u32 s2, s10, s14
	s_addc_u32 s3, s11, s15
	s_waitcnt lgkmcnt(0)
	s_mov_b64 s[4:5], -1
	s_and_b64 vcc, exec, s[12:13]
	s_barrier
	s_cbranch_vccz .LBB60_71
; %bb.70:
	v_mul_u32_u24_e32 v32, 0x78, v0
	s_movk_i32 s4, 0x78
	ds_write2_b64 v32, v[2:3], v[4:5] offset1:1
	ds_write2_b64 v32, v[6:7], v[8:9] offset0:2 offset1:3
	ds_write2_b64 v32, v[10:11], v[12:13] offset0:4 offset1:5
	;; [unrolled: 1-line block ×6, first 2 shown]
	ds_write_b64 v32, v[30:31] offset:112
	v_mul_i32_i24_e32 v32, 0xffffff90, v0
	v_mad_u32_u24 v60, v0, s4, v32
	v_mov_b32_e32 v63, 0
	s_waitcnt lgkmcnt(0)
	s_barrier
	ds_read2st64_b64 v[32:35], v60 offset1:4
	ds_read2st64_b64 v[36:39], v60 offset0:8 offset1:12
	ds_read2st64_b64 v[40:43], v60 offset0:16 offset1:20
	;; [unrolled: 1-line block ×6, first 2 shown]
	ds_read_b64 v[60:61], v60 offset:28672
	v_lshl_add_u64 v[64:65], s[2:3], 0, v[62:63]
	s_movk_i32 s4, 0x1000
	s_waitcnt lgkmcnt(7)
	global_store_dwordx2 v62, v[32:33], s[2:3]
	global_store_dwordx2 v62, v[34:35], s[2:3] offset:2048
	v_add_co_u32_e32 v32, vcc, s4, v64
	s_movk_i32 s4, 0x2000
	s_nop 0
	v_addc_co_u32_e32 v33, vcc, 0, v65, vcc
	v_add_co_u32_e32 v34, vcc, s4, v64
	s_movk_i32 s4, 0x3000
	s_nop 0
	v_addc_co_u32_e32 v35, vcc, 0, v65, vcc
	s_waitcnt lgkmcnt(6)
	global_store_dwordx2 v[34:35], v[36:37], off offset:-4096
	global_store_dwordx2 v[32:33], v[38:39], off offset:2048
	s_waitcnt lgkmcnt(5)
	global_store_dwordx2 v[34:35], v[40:41], off
	global_store_dwordx2 v[34:35], v[42:43], off offset:2048
	v_add_co_u32_e32 v32, vcc, s4, v64
	s_movk_i32 s4, 0x4000
	s_nop 0
	v_addc_co_u32_e32 v33, vcc, 0, v65, vcc
	v_add_co_u32_e32 v34, vcc, s4, v64
	s_movk_i32 s4, 0x5000
	s_nop 0
	v_addc_co_u32_e32 v35, vcc, 0, v65, vcc
	s_waitcnt lgkmcnt(4)
	global_store_dwordx2 v[34:35], v[44:45], off offset:-4096
	global_store_dwordx2 v[32:33], v[46:47], off offset:2048
	s_waitcnt lgkmcnt(3)
	global_store_dwordx2 v[34:35], v[48:49], off
	global_store_dwordx2 v[34:35], v[50:51], off offset:2048
	v_add_co_u32_e32 v32, vcc, s4, v64
	s_mov_b64 s[4:5], 0
	s_nop 0
	v_addc_co_u32_e32 v33, vcc, 0, v65, vcc
	s_waitcnt lgkmcnt(2)
	global_store_dwordx2 v[32:33], v[52:53], off
	global_store_dwordx2 v[32:33], v[54:55], off offset:2048
	v_add_co_u32_e32 v32, vcc, 0x6000, v64
	s_nop 1
	v_addc_co_u32_e32 v33, vcc, 0, v65, vcc
	s_waitcnt lgkmcnt(1)
	global_store_dwordx2 v[32:33], v[56:57], off
	global_store_dwordx2 v[32:33], v[58:59], off offset:2048
	v_add_co_u32_e32 v32, vcc, 0x7000, v64
	s_nop 1
	v_addc_co_u32_e32 v33, vcc, 0, v65, vcc
	s_waitcnt lgkmcnt(0)
	global_store_dwordx2 v[32:33], v[60:61], off
.LBB60_71:
	s_andn2_b64 vcc, exec, s[4:5]
	s_cbranch_vccnz .LBB60_157
; %bb.72:
	s_movk_i32 s4, 0xff90
	ds_write2_b64 v1, v[2:3], v[4:5] offset1:1
	ds_write2_b64 v1, v[6:7], v[8:9] offset0:2 offset1:3
	ds_write2_b64 v1, v[10:11], v[12:13] offset0:4 offset1:5
	;; [unrolled: 1-line block ×6, first 2 shown]
	ds_write_b64 v1, v[30:31] offset:112
	v_mad_i32_i24 v1, v0, s4, v1
	s_waitcnt lgkmcnt(0)
	s_barrier
	ds_read2st64_b64 v[6:9], v1 offset1:4
	ds_read2st64_b64 v[14:17], v1 offset0:8 offset1:12
	ds_read2st64_b64 v[10:13], v1 offset0:16 offset1:20
	ds_read2st64_b64 v[26:29], v1 offset0:24 offset1:28
	ds_read2st64_b64 v[18:21], v1 offset0:32 offset1:36
	ds_read2st64_b64 v[2:5], v1 offset0:40 offset1:44
	ds_read2st64_b64 v[22:25], v1 offset0:48 offset1:52
	ds_read_b64 v[30:31], v1 offset:28672
	v_mov_b32_e32 v63, 0
	v_lshl_add_u64 v[32:33], s[2:3], 0, v[62:63]
	v_cmp_gt_u32_e32 vcc, s22, v0
	s_and_saveexec_b64 s[2:3], vcc
	s_cbranch_execz .LBB60_74
; %bb.73:
	s_waitcnt lgkmcnt(7)
	global_store_dwordx2 v[32:33], v[6:7], off
.LBB60_74:
	s_or_b64 exec, exec, s[2:3]
	v_or_b32_e32 v1, 0x100, v0
	v_cmp_gt_u32_e32 vcc, s22, v1
	s_and_saveexec_b64 s[2:3], vcc
	s_cbranch_execz .LBB60_76
; %bb.75:
	s_waitcnt lgkmcnt(7)
	global_store_dwordx2 v[32:33], v[8:9], off offset:2048
.LBB60_76:
	s_or_b64 exec, exec, s[2:3]
	v_or_b32_e32 v1, 0x200, v0
	v_cmp_gt_u32_e32 vcc, s22, v1
	s_and_saveexec_b64 s[2:3], vcc
	s_cbranch_execz .LBB60_78
; %bb.77:
	v_add_co_u32_e32 v34, vcc, 0x1000, v32
	s_nop 1
	v_addc_co_u32_e32 v35, vcc, 0, v33, vcc
	s_waitcnt lgkmcnt(6)
	global_store_dwordx2 v[34:35], v[14:15], off
.LBB60_78:
	s_or_b64 exec, exec, s[2:3]
	v_or_b32_e32 v1, 0x300, v0
	v_cmp_gt_u32_e32 vcc, s22, v1
	s_and_saveexec_b64 s[2:3], vcc
	s_cbranch_execz .LBB60_80
; %bb.79:
	v_add_co_u32_e32 v34, vcc, 0x1000, v32
	s_nop 1
	v_addc_co_u32_e32 v35, vcc, 0, v33, vcc
	s_waitcnt lgkmcnt(6)
	global_store_dwordx2 v[34:35], v[16:17], off offset:2048
.LBB60_80:
	s_or_b64 exec, exec, s[2:3]
	v_or_b32_e32 v1, 0x400, v0
	v_cmp_gt_u32_e32 vcc, s22, v1
	s_and_saveexec_b64 s[2:3], vcc
	s_cbranch_execz .LBB60_82
; %bb.81:
	v_add_co_u32_e32 v34, vcc, 0x2000, v32
	s_nop 1
	v_addc_co_u32_e32 v35, vcc, 0, v33, vcc
	s_waitcnt lgkmcnt(5)
	global_store_dwordx2 v[34:35], v[10:11], off
.LBB60_82:
	s_or_b64 exec, exec, s[2:3]
	v_or_b32_e32 v1, 0x500, v0
	v_cmp_gt_u32_e32 vcc, s22, v1
	s_and_saveexec_b64 s[2:3], vcc
	s_cbranch_execz .LBB60_84
; %bb.83:
	v_add_co_u32_e32 v34, vcc, 0x2000, v32
	s_nop 1
	v_addc_co_u32_e32 v35, vcc, 0, v33, vcc
	s_waitcnt lgkmcnt(5)
	global_store_dwordx2 v[34:35], v[12:13], off offset:2048
.LBB60_84:
	;; [unrolled: 24-line block ×6, first 2 shown]
	s_or_b64 exec, exec, s[2:3]
	v_or_b32_e32 v1, 0xe00, v0
	v_cmp_gt_u32_e32 vcc, s22, v1
	s_and_saveexec_b64 s[2:3], vcc
	s_cbranch_execz .LBB60_102
; %bb.101:
	v_add_co_u32_e32 v32, vcc, 0x7000, v32
	s_nop 1
	v_addc_co_u32_e32 v33, vcc, 0, v33, vcc
	s_waitcnt lgkmcnt(0)
	global_store_dwordx2 v[32:33], v[30:31], off
.LBB60_102:
	s_or_b64 exec, exec, s[2:3]
	s_load_dword s0, s[0:1], 0x48
	s_waitcnt lgkmcnt(0)
	s_bfe_u32 s0, s0, 0x10008
	s_cmp_eq_u32 s0, 0
	s_cbranch_scc1 .LBB60_157
; %bb.103:
	s_add_u32 s0, s22, -1
	s_addc_u32 s1, s23, -1
	s_add_u32 s2, 0, 0x11108400
	s_addc_u32 s3, 0, 49
	s_add_i32 s3, s3, 0x111110e0
	s_mul_hi_u32 s9, s2, -15
	s_sub_i32 s9, s9, s2
	s_mul_i32 s10, s3, -15
	s_mul_i32 s4, s2, -15
	s_add_i32 s9, s9, s10
	s_mul_hi_u32 s5, s3, s4
	s_mul_i32 s8, s3, s4
	s_mul_i32 s11, s2, s9
	s_mul_hi_u32 s4, s2, s4
	s_mul_hi_u32 s10, s2, s9
	s_add_u32 s4, s4, s11
	s_addc_u32 s10, 0, s10
	s_add_u32 s4, s4, s8
	s_mul_hi_u32 s11, s3, s9
	s_addc_u32 s4, s10, s5
	s_addc_u32 s5, s11, 0
	s_mul_i32 s8, s3, s9
	s_add_u32 s4, s4, s8
	v_mov_b32_e32 v32, s4
	s_addc_u32 s5, 0, s5
	v_add_co_u32_e32 v32, vcc, s2, v32
	s_cmp_lg_u64 vcc, 0
	s_addc_u32 s2, s3, s5
	v_readfirstlane_b32 s5, v32
	s_mul_i32 s4, s0, s2
	s_mul_hi_u32 s8, s0, s5
	s_mul_hi_u32 s3, s0, s2
	s_add_u32 s4, s8, s4
	s_addc_u32 s3, 0, s3
	s_mul_hi_u32 s9, s1, s5
	s_mul_i32 s5, s1, s5
	s_add_u32 s4, s4, s5
	s_mul_hi_u32 s8, s1, s2
	s_addc_u32 s3, s3, s9
	s_addc_u32 s4, s8, 0
	s_mul_i32 s2, s1, s2
	s_add_u32 s2, s3, s2
	s_addc_u32 s3, 0, s4
	s_add_u32 s4, s2, 1
	s_addc_u32 s5, s3, 0
	s_add_u32 s8, s2, 2
	s_mul_i32 s10, s3, 15
	s_mul_hi_u32 s11, s2, 15
	s_addc_u32 s9, s3, 0
	s_add_i32 s11, s11, s10
	s_mul_i32 s10, s2, 15
	v_mov_b32_e32 v32, s10
	v_sub_co_u32_e32 v32, vcc, s0, v32
	s_cmp_lg_u64 vcc, 0
	s_subb_u32 s10, s1, s11
	v_subrev_co_u32_e32 v33, vcc, 15, v32
	s_cmp_lg_u64 vcc, 0
	s_subb_u32 s11, s10, 0
	v_readfirstlane_b32 s12, v33
	s_cmp_gt_u32 s12, 14
	s_cselect_b32 s12, -1, 0
	s_cmp_eq_u32 s11, 0
	s_cselect_b32 s11, s12, -1
	s_cmp_lg_u32 s11, 0
	s_cselect_b32 s4, s8, s4
	v_readfirstlane_b32 s8, v32
	s_cselect_b32 s5, s9, s5
	s_cmp_gt_u32 s8, 14
	s_cselect_b32 s8, -1, 0
	s_cmp_eq_u32 s10, 0
	s_cselect_b32 s8, s8, -1
	s_cmp_lg_u32 s8, 0
	v_mov_b32_e32 v1, v63
	s_cselect_b32 s3, s5, s3
	s_cselect_b32 s2, s4, s2
	v_cmp_eq_u64_e32 vcc, s[2:3], v[0:1]
	s_and_saveexec_b64 s[2:3], vcc
	s_cbranch_execz .LBB60_157
; %bb.104:
	v_mul_hi_u32_u24_e32 v1, 15, v0
	v_mov_b32_e32 v32, s1
	v_sub_co_u32_e32 v0, vcc, s0, v66
	s_nop 1
	v_subb_co_u32_e32 v1, vcc, v32, v1, vcc
	v_cmp_lt_i64_e32 vcc, 7, v[0:1]
	s_and_saveexec_b64 s[0:1], vcc
	s_xor_b64 s[0:1], exec, s[0:1]
	s_cbranch_execz .LBB60_130
; %bb.105:
	v_cmp_lt_i64_e32 vcc, 10, v[0:1]
	s_and_saveexec_b64 s[2:3], vcc
	s_xor_b64 s[2:3], exec, s[2:3]
	s_cbranch_execz .LBB60_119
; %bb.106:
	;; [unrolled: 5-line block ×4, first 2 shown]
	v_mov_b32_e32 v0, 0
	global_store_dwordx2 v0, v[30:31], s[6:7]
                                        ; implicit-def: $vgpr22_vgpr23_vgpr24_vgpr25
.LBB60_109:
	s_andn2_saveexec_b64 s[8:9], s[8:9]
	s_cbranch_execz .LBB60_111
; %bb.110:
	v_mov_b32_e32 v0, 0
	global_store_dwordx2 v0, v[24:25], s[6:7]
.LBB60_111:
	s_or_b64 exec, exec, s[8:9]
                                        ; implicit-def: $vgpr2_vgpr3_vgpr4_vgpr5
                                        ; implicit-def: $vgpr0_vgpr1
                                        ; implicit-def: $vgpr22_vgpr23_vgpr24_vgpr25
.LBB60_112:
	s_andn2_saveexec_b64 s[4:5], s[4:5]
	s_cbranch_execz .LBB60_118
; %bb.113:
	v_cmp_lt_i64_e32 vcc, 11, v[0:1]
	s_and_saveexec_b64 s[8:9], vcc
	s_xor_b64 s[8:9], exec, s[8:9]
	s_cbranch_execz .LBB60_115
; %bb.114:
	v_mov_b32_e32 v0, 0
	global_store_dwordx2 v0, v[22:23], s[6:7]
                                        ; implicit-def: $vgpr2_vgpr3_vgpr4_vgpr5
.LBB60_115:
	s_andn2_saveexec_b64 s[8:9], s[8:9]
	s_cbranch_execz .LBB60_117
; %bb.116:
	v_mov_b32_e32 v0, 0
	global_store_dwordx2 v0, v[4:5], s[6:7]
.LBB60_117:
	s_or_b64 exec, exec, s[8:9]
.LBB60_118:
	s_or_b64 exec, exec, s[4:5]
                                        ; implicit-def: $vgpr18_vgpr19_vgpr20_vgpr21
                                        ; implicit-def: $vgpr0_vgpr1
                                        ; implicit-def: $vgpr2_vgpr3_vgpr4_vgpr5
.LBB60_119:
	s_andn2_saveexec_b64 s[2:3], s[2:3]
	s_cbranch_execz .LBB60_129
; %bb.120:
	v_cmp_lt_i64_e32 vcc, 8, v[0:1]
	s_and_saveexec_b64 s[4:5], vcc
	s_xor_b64 s[4:5], exec, s[4:5]
	s_cbranch_execz .LBB60_126
; %bb.121:
	v_cmp_lt_i64_e32 vcc, 9, v[0:1]
	s_and_saveexec_b64 s[8:9], vcc
	s_xor_b64 s[8:9], exec, s[8:9]
	s_cbranch_execz .LBB60_123
; %bb.122:
	v_mov_b32_e32 v0, 0
	global_store_dwordx2 v0, v[2:3], s[6:7]
                                        ; implicit-def: $vgpr18_vgpr19_vgpr20_vgpr21
.LBB60_123:
	s_andn2_saveexec_b64 s[8:9], s[8:9]
	s_cbranch_execz .LBB60_125
; %bb.124:
	v_mov_b32_e32 v0, 0
	global_store_dwordx2 v0, v[20:21], s[6:7]
.LBB60_125:
	s_or_b64 exec, exec, s[8:9]
                                        ; implicit-def: $vgpr18_vgpr19_vgpr20_vgpr21
.LBB60_126:
	s_andn2_saveexec_b64 s[4:5], s[4:5]
	s_cbranch_execz .LBB60_128
; %bb.127:
	v_mov_b32_e32 v0, 0
	global_store_dwordx2 v0, v[18:19], s[6:7]
.LBB60_128:
	s_or_b64 exec, exec, s[4:5]
.LBB60_129:
	s_or_b64 exec, exec, s[2:3]
                                        ; implicit-def: $vgpr0_vgpr1
                                        ; implicit-def: $vgpr6_vgpr7_vgpr8_vgpr9
                                        ; implicit-def: $vgpr10_vgpr11_vgpr12_vgpr13
                                        ; implicit-def: $vgpr14_vgpr15_vgpr16_vgpr17
                                        ; implicit-def: $vgpr26_vgpr27_vgpr28_vgpr29
.LBB60_130:
	s_andn2_saveexec_b64 s[0:1], s[0:1]
	s_cbranch_execz .LBB60_157
; %bb.131:
	v_cmp_lt_i64_e32 vcc, 3, v[0:1]
	s_and_saveexec_b64 s[0:1], vcc
	s_xor_b64 s[0:1], exec, s[0:1]
	s_cbranch_execz .LBB60_145
; %bb.132:
	v_cmp_lt_i64_e32 vcc, 5, v[0:1]
	s_and_saveexec_b64 s[2:3], vcc
	s_xor_b64 s[2:3], exec, s[2:3]
	;; [unrolled: 5-line block ×3, first 2 shown]
	s_cbranch_execz .LBB60_135
; %bb.134:
	v_mov_b32_e32 v0, 0
	global_store_dwordx2 v0, v[28:29], s[6:7]
                                        ; implicit-def: $vgpr26_vgpr27_vgpr28_vgpr29
.LBB60_135:
	s_andn2_saveexec_b64 s[4:5], s[4:5]
	s_cbranch_execz .LBB60_137
; %bb.136:
	v_mov_b32_e32 v0, 0
	global_store_dwordx2 v0, v[26:27], s[6:7]
.LBB60_137:
	s_or_b64 exec, exec, s[4:5]
                                        ; implicit-def: $vgpr10_vgpr11_vgpr12_vgpr13
                                        ; implicit-def: $vgpr0_vgpr1
.LBB60_138:
	s_andn2_saveexec_b64 s[2:3], s[2:3]
	s_cbranch_execz .LBB60_144
; %bb.139:
	v_cmp_lt_i64_e32 vcc, 4, v[0:1]
	s_and_saveexec_b64 s[4:5], vcc
	s_xor_b64 s[4:5], exec, s[4:5]
	s_cbranch_execz .LBB60_141
; %bb.140:
	v_mov_b32_e32 v0, 0
	global_store_dwordx2 v0, v[12:13], s[6:7]
                                        ; implicit-def: $vgpr10_vgpr11_vgpr12_vgpr13
.LBB60_141:
	s_andn2_saveexec_b64 s[4:5], s[4:5]
	s_cbranch_execz .LBB60_143
; %bb.142:
	v_mov_b32_e32 v0, 0
	global_store_dwordx2 v0, v[10:11], s[6:7]
.LBB60_143:
	s_or_b64 exec, exec, s[4:5]
.LBB60_144:
	s_or_b64 exec, exec, s[2:3]
                                        ; implicit-def: $vgpr0_vgpr1
                                        ; implicit-def: $vgpr6_vgpr7_vgpr8_vgpr9
                                        ; implicit-def: $vgpr14_vgpr15_vgpr16_vgpr17
.LBB60_145:
	s_andn2_saveexec_b64 s[0:1], s[0:1]
	s_cbranch_execz .LBB60_157
; %bb.146:
	v_cmp_lt_i64_e32 vcc, 1, v[0:1]
	s_and_saveexec_b64 s[0:1], vcc
	s_xor_b64 s[0:1], exec, s[0:1]
	s_cbranch_execz .LBB60_152
; %bb.147:
	v_cmp_lt_i64_e32 vcc, 2, v[0:1]
	s_and_saveexec_b64 s[2:3], vcc
	s_xor_b64 s[2:3], exec, s[2:3]
	s_cbranch_execz .LBB60_149
; %bb.148:
	v_mov_b32_e32 v0, 0
	global_store_dwordx2 v0, v[16:17], s[6:7]
                                        ; implicit-def: $vgpr14_vgpr15_vgpr16_vgpr17
.LBB60_149:
	s_andn2_saveexec_b64 s[2:3], s[2:3]
	s_cbranch_execz .LBB60_151
; %bb.150:
	v_mov_b32_e32 v0, 0
	global_store_dwordx2 v0, v[14:15], s[6:7]
.LBB60_151:
	s_or_b64 exec, exec, s[2:3]
                                        ; implicit-def: $vgpr6_vgpr7_vgpr8_vgpr9
                                        ; implicit-def: $vgpr0_vgpr1
.LBB60_152:
	s_andn2_saveexec_b64 s[0:1], s[0:1]
	s_cbranch_execz .LBB60_157
; %bb.153:
	v_cmp_ne_u64_e32 vcc, 1, v[0:1]
	s_and_saveexec_b64 s[0:1], vcc
	s_xor_b64 s[0:1], exec, s[0:1]
	s_cbranch_execz .LBB60_155
; %bb.154:
	v_mov_b32_e32 v0, 0
	global_store_dwordx2 v0, v[6:7], s[6:7]
                                        ; implicit-def: $vgpr6_vgpr7_vgpr8_vgpr9
.LBB60_155:
	s_andn2_saveexec_b64 s[0:1], s[0:1]
	s_cbranch_execz .LBB60_157
; %bb.156:
	v_mov_b32_e32 v0, 0
	global_store_dwordx2 v0, v[8:9], s[6:7]
.LBB60_157:
	s_endpgm
	.section	.rodata,"a",@progbits
	.p2align	6, 0x0
	.amdhsa_kernel _ZN7rocprim17ROCPRIM_304000_NS6detail20lookback_scan_kernelILNS1_25lookback_scan_determinismE0ELb0ENS1_19wrapped_scan_configINS0_14default_configEdEEPKdPdSt4plusIdEddNS1_19lookback_scan_stateIdLb0ELb1EEEEEvT2_T3_mT5_T4_T7_jPT6_SK_bb
		.amdhsa_group_segment_fixed_size 30720
		.amdhsa_private_segment_fixed_size 0
		.amdhsa_kernarg_size 76
		.amdhsa_user_sgpr_count 2
		.amdhsa_user_sgpr_dispatch_ptr 0
		.amdhsa_user_sgpr_queue_ptr 0
		.amdhsa_user_sgpr_kernarg_segment_ptr 1
		.amdhsa_user_sgpr_dispatch_id 0
		.amdhsa_user_sgpr_kernarg_preload_length 0
		.amdhsa_user_sgpr_kernarg_preload_offset 0
		.amdhsa_user_sgpr_private_segment_size 0
		.amdhsa_uses_dynamic_stack 0
		.amdhsa_enable_private_segment 0
		.amdhsa_system_sgpr_workgroup_id_x 1
		.amdhsa_system_sgpr_workgroup_id_y 0
		.amdhsa_system_sgpr_workgroup_id_z 0
		.amdhsa_system_sgpr_workgroup_info 0
		.amdhsa_system_vgpr_workitem_id 0
		.amdhsa_next_free_vgpr 67
		.amdhsa_next_free_sgpr 68
		.amdhsa_accum_offset 68
		.amdhsa_reserve_vcc 1
		.amdhsa_float_round_mode_32 0
		.amdhsa_float_round_mode_16_64 0
		.amdhsa_float_denorm_mode_32 3
		.amdhsa_float_denorm_mode_16_64 3
		.amdhsa_dx10_clamp 1
		.amdhsa_ieee_mode 1
		.amdhsa_fp16_overflow 0
		.amdhsa_tg_split 0
		.amdhsa_exception_fp_ieee_invalid_op 0
		.amdhsa_exception_fp_denorm_src 0
		.amdhsa_exception_fp_ieee_div_zero 0
		.amdhsa_exception_fp_ieee_overflow 0
		.amdhsa_exception_fp_ieee_underflow 0
		.amdhsa_exception_fp_ieee_inexact 0
		.amdhsa_exception_int_div_zero 0
	.end_amdhsa_kernel
	.section	.text._ZN7rocprim17ROCPRIM_304000_NS6detail20lookback_scan_kernelILNS1_25lookback_scan_determinismE0ELb0ENS1_19wrapped_scan_configINS0_14default_configEdEEPKdPdSt4plusIdEddNS1_19lookback_scan_stateIdLb0ELb1EEEEEvT2_T3_mT5_T4_T7_jPT6_SK_bb,"axG",@progbits,_ZN7rocprim17ROCPRIM_304000_NS6detail20lookback_scan_kernelILNS1_25lookback_scan_determinismE0ELb0ENS1_19wrapped_scan_configINS0_14default_configEdEEPKdPdSt4plusIdEddNS1_19lookback_scan_stateIdLb0ELb1EEEEEvT2_T3_mT5_T4_T7_jPT6_SK_bb,comdat
.Lfunc_end60:
	.size	_ZN7rocprim17ROCPRIM_304000_NS6detail20lookback_scan_kernelILNS1_25lookback_scan_determinismE0ELb0ENS1_19wrapped_scan_configINS0_14default_configEdEEPKdPdSt4plusIdEddNS1_19lookback_scan_stateIdLb0ELb1EEEEEvT2_T3_mT5_T4_T7_jPT6_SK_bb, .Lfunc_end60-_ZN7rocprim17ROCPRIM_304000_NS6detail20lookback_scan_kernelILNS1_25lookback_scan_determinismE0ELb0ENS1_19wrapped_scan_configINS0_14default_configEdEEPKdPdSt4plusIdEddNS1_19lookback_scan_stateIdLb0ELb1EEEEEvT2_T3_mT5_T4_T7_jPT6_SK_bb
                                        ; -- End function
	.section	.AMDGPU.csdata,"",@progbits
; Kernel info:
; codeLenInByte = 7024
; NumSgprs: 74
; NumVgprs: 67
; NumAgprs: 0
; TotalNumVgprs: 67
; ScratchSize: 0
; MemoryBound: 1
; FloatMode: 240
; IeeeMode: 1
; LDSByteSize: 30720 bytes/workgroup (compile time only)
; SGPRBlocks: 9
; VGPRBlocks: 8
; NumSGPRsForWavesPerEU: 74
; NumVGPRsForWavesPerEU: 67
; AccumOffset: 68
; Occupancy: 2
; WaveLimiterHint : 1
; COMPUTE_PGM_RSRC2:SCRATCH_EN: 0
; COMPUTE_PGM_RSRC2:USER_SGPR: 2
; COMPUTE_PGM_RSRC2:TRAP_HANDLER: 0
; COMPUTE_PGM_RSRC2:TGID_X_EN: 1
; COMPUTE_PGM_RSRC2:TGID_Y_EN: 0
; COMPUTE_PGM_RSRC2:TGID_Z_EN: 0
; COMPUTE_PGM_RSRC2:TIDIG_COMP_CNT: 0
; COMPUTE_PGM_RSRC3_GFX90A:ACCUM_OFFSET: 16
; COMPUTE_PGM_RSRC3_GFX90A:TG_SPLIT: 0
	.section	.text._ZN7rocprim17ROCPRIM_304000_NS6detail16transform_kernelINS1_24wrapped_transform_configINS0_14default_configEdEEdPdS6_NS0_8identityIdEEEEvT1_mT2_T3_,"axG",@progbits,_ZN7rocprim17ROCPRIM_304000_NS6detail16transform_kernelINS1_24wrapped_transform_configINS0_14default_configEdEEdPdS6_NS0_8identityIdEEEEvT1_mT2_T3_,comdat
	.protected	_ZN7rocprim17ROCPRIM_304000_NS6detail16transform_kernelINS1_24wrapped_transform_configINS0_14default_configEdEEdPdS6_NS0_8identityIdEEEEvT1_mT2_T3_ ; -- Begin function _ZN7rocprim17ROCPRIM_304000_NS6detail16transform_kernelINS1_24wrapped_transform_configINS0_14default_configEdEEdPdS6_NS0_8identityIdEEEEvT1_mT2_T3_
	.globl	_ZN7rocprim17ROCPRIM_304000_NS6detail16transform_kernelINS1_24wrapped_transform_configINS0_14default_configEdEEdPdS6_NS0_8identityIdEEEEvT1_mT2_T3_
	.p2align	8
	.type	_ZN7rocprim17ROCPRIM_304000_NS6detail16transform_kernelINS1_24wrapped_transform_configINS0_14default_configEdEEdPdS6_NS0_8identityIdEEEEvT1_mT2_T3_,@function
_ZN7rocprim17ROCPRIM_304000_NS6detail16transform_kernelINS1_24wrapped_transform_configINS0_14default_configEdEEdPdS6_NS0_8identityIdEEEEvT1_mT2_T3_: ; @_ZN7rocprim17ROCPRIM_304000_NS6detail16transform_kernelINS1_24wrapped_transform_configINS0_14default_configEdEEdPdS6_NS0_8identityIdEEEEvT1_mT2_T3_
; %bb.0:
	s_load_dword s3, s[0:1], 0x20
	s_load_dwordx4 s[4:7], s[0:1], 0x0
	s_load_dwordx2 s[8:9], s[0:1], 0x10
	s_lshl_b32 s0, s2, 12
	s_mov_b32 s1, 0
	s_waitcnt lgkmcnt(0)
	s_add_i32 s3, s3, -1
	s_lshl_b64 s[10:11], s[0:1], 3
	s_add_u32 s4, s4, s10
	s_addc_u32 s5, s5, s11
	v_mov_b32_e32 v11, 0
	v_lshlrev_b32_e32 v10, 3, v0
	s_cmp_lg_u32 s2, s3
	v_lshl_add_u64 v[12:13], s[4:5], 0, v[10:11]
	s_cbranch_scc0 .LBB61_2
; %bb.1:
	v_add_co_u32_e32 v2, vcc, 0x2000, v12
	s_add_u32 s4, s8, s10
	s_nop 0
	v_addc_co_u32_e32 v3, vcc, 0, v13, vcc
	v_add_co_u32_e32 v4, vcc, 0x4000, v12
	s_addc_u32 s5, s9, s11
	s_nop 0
	v_addc_co_u32_e32 v5, vcc, 0, v13, vcc
	global_load_dwordx2 v[6:7], v[12:13], off
	global_load_dwordx2 v[14:15], v[2:3], off
	;; [unrolled: 1-line block ×3, first 2 shown]
	v_add_co_u32_e32 v2, vcc, 0x6000, v12
	s_nop 1
	v_addc_co_u32_e32 v3, vcc, 0, v13, vcc
	global_load_dwordx2 v[8:9], v[2:3], off
	v_lshl_add_u64 v[2:3], s[4:5], 0, v[10:11]
	v_add_co_u32_e32 v4, vcc, 0x2000, v2
	s_mov_b64 s[12:13], -1
	s_nop 0
	v_addc_co_u32_e32 v5, vcc, 0, v3, vcc
	v_add_co_u32_e32 v2, vcc, 0x4000, v2
	s_nop 1
	v_addc_co_u32_e32 v3, vcc, 0, v3, vcc
	s_waitcnt vmcnt(3)
	global_store_dwordx2 v10, v[6:7], s[4:5]
	s_waitcnt vmcnt(3)
	global_store_dwordx2 v[4:5], v[14:15], off
	s_waitcnt vmcnt(3)
	global_store_dwordx2 v[2:3], v[16:17], off
	s_cbranch_execz .LBB61_3
	s_branch .LBB61_16
.LBB61_2:
	s_mov_b64 s[12:13], 0
                                        ; implicit-def: $vgpr8_vgpr9
.LBB61_3:
	s_sub_i32 s12, s6, s0
	v_cmp_gt_u32_e64 s[0:1], s12, v0
                                        ; implicit-def: $vgpr2_vgpr3_vgpr4_vgpr5_vgpr6_vgpr7_vgpr8_vgpr9
	s_and_saveexec_b64 s[2:3], s[0:1]
	s_cbranch_execz .LBB61_5
; %bb.4:
	global_load_dwordx2 v[2:3], v[12:13], off
.LBB61_5:
	s_or_b64 exec, exec, s[2:3]
	v_or_b32_e32 v1, 0x400, v0
	v_cmp_gt_u32_e64 s[2:3], s12, v1
	s_and_saveexec_b64 s[4:5], s[2:3]
	s_cbranch_execz .LBB61_7
; %bb.6:
	v_add_co_u32_e32 v4, vcc, 0x2000, v12
	s_nop 1
	v_addc_co_u32_e32 v5, vcc, 0, v13, vcc
	global_load_dwordx2 v[4:5], v[4:5], off
.LBB61_7:
	s_or_b64 exec, exec, s[4:5]
	v_or_b32_e32 v1, 0x800, v0
	v_cmp_gt_u32_e64 s[4:5], s12, v1
	s_and_saveexec_b64 s[6:7], s[4:5]
	s_cbranch_execz .LBB61_9
; %bb.8:
	v_add_co_u32_e32 v6, vcc, 0x4000, v12
	s_nop 1
	v_addc_co_u32_e32 v7, vcc, 0, v13, vcc
	global_load_dwordx2 v[6:7], v[6:7], off
.LBB61_9:
	;; [unrolled: 11-line block ×3, first 2 shown]
	s_or_b64 exec, exec, s[6:7]
	s_add_u32 s6, s8, s10
	s_addc_u32 s7, s9, s11
	v_mov_b32_e32 v11, 0
	v_lshl_add_u64 v[0:1], s[6:7], 0, v[10:11]
	s_and_saveexec_b64 s[6:7], s[0:1]
	s_cbranch_execnz .LBB61_19
; %bb.12:
	s_or_b64 exec, exec, s[6:7]
	s_and_saveexec_b64 s[0:1], s[2:3]
	s_cbranch_execnz .LBB61_20
.LBB61_13:
	s_or_b64 exec, exec, s[0:1]
	s_and_saveexec_b64 s[0:1], s[4:5]
	s_cbranch_execz .LBB61_15
.LBB61_14:
	v_add_co_u32_e32 v0, vcc, 0x4000, v0
	s_nop 1
	v_addc_co_u32_e32 v1, vcc, 0, v1, vcc
	s_waitcnt vmcnt(0)
	global_store_dwordx2 v[0:1], v[6:7], off
.LBB61_15:
	s_or_b64 exec, exec, s[0:1]
.LBB61_16:
	s_and_saveexec_b64 s[0:1], s[12:13]
	s_cbranch_execnz .LBB61_18
; %bb.17:
	s_endpgm
.LBB61_18:
	s_add_u32 s0, s8, s10
	s_addc_u32 s1, s9, s11
	v_mov_b32_e32 v11, 0
	v_lshl_add_u64 v[0:1], s[0:1], 0, v[10:11]
	v_add_co_u32_e32 v0, vcc, 0x6000, v0
	s_nop 1
	v_addc_co_u32_e32 v1, vcc, 0, v1, vcc
	s_waitcnt vmcnt(0)
	global_store_dwordx2 v[0:1], v[8:9], off
	s_endpgm
.LBB61_19:
	s_waitcnt vmcnt(0)
	global_store_dwordx2 v[0:1], v[2:3], off
	s_or_b64 exec, exec, s[6:7]
	s_and_saveexec_b64 s[0:1], s[2:3]
	s_cbranch_execz .LBB61_13
.LBB61_20:
	s_waitcnt vmcnt(0)
	v_add_co_u32_e32 v2, vcc, 0x2000, v0
	s_nop 1
	v_addc_co_u32_e32 v3, vcc, 0, v1, vcc
	global_store_dwordx2 v[2:3], v[4:5], off
	s_or_b64 exec, exec, s[0:1]
	s_and_saveexec_b64 s[0:1], s[4:5]
	s_cbranch_execnz .LBB61_14
	s_branch .LBB61_15
	.section	.rodata,"a",@progbits
	.p2align	6, 0x0
	.amdhsa_kernel _ZN7rocprim17ROCPRIM_304000_NS6detail16transform_kernelINS1_24wrapped_transform_configINS0_14default_configEdEEdPdS6_NS0_8identityIdEEEEvT1_mT2_T3_
		.amdhsa_group_segment_fixed_size 0
		.amdhsa_private_segment_fixed_size 0
		.amdhsa_kernarg_size 288
		.amdhsa_user_sgpr_count 2
		.amdhsa_user_sgpr_dispatch_ptr 0
		.amdhsa_user_sgpr_queue_ptr 0
		.amdhsa_user_sgpr_kernarg_segment_ptr 1
		.amdhsa_user_sgpr_dispatch_id 0
		.amdhsa_user_sgpr_kernarg_preload_length 0
		.amdhsa_user_sgpr_kernarg_preload_offset 0
		.amdhsa_user_sgpr_private_segment_size 0
		.amdhsa_uses_dynamic_stack 0
		.amdhsa_enable_private_segment 0
		.amdhsa_system_sgpr_workgroup_id_x 1
		.amdhsa_system_sgpr_workgroup_id_y 0
		.amdhsa_system_sgpr_workgroup_id_z 0
		.amdhsa_system_sgpr_workgroup_info 0
		.amdhsa_system_vgpr_workitem_id 0
		.amdhsa_next_free_vgpr 18
		.amdhsa_next_free_sgpr 14
		.amdhsa_accum_offset 20
		.amdhsa_reserve_vcc 1
		.amdhsa_float_round_mode_32 0
		.amdhsa_float_round_mode_16_64 0
		.amdhsa_float_denorm_mode_32 3
		.amdhsa_float_denorm_mode_16_64 3
		.amdhsa_dx10_clamp 1
		.amdhsa_ieee_mode 1
		.amdhsa_fp16_overflow 0
		.amdhsa_tg_split 0
		.amdhsa_exception_fp_ieee_invalid_op 0
		.amdhsa_exception_fp_denorm_src 0
		.amdhsa_exception_fp_ieee_div_zero 0
		.amdhsa_exception_fp_ieee_overflow 0
		.amdhsa_exception_fp_ieee_underflow 0
		.amdhsa_exception_fp_ieee_inexact 0
		.amdhsa_exception_int_div_zero 0
	.end_amdhsa_kernel
	.section	.text._ZN7rocprim17ROCPRIM_304000_NS6detail16transform_kernelINS1_24wrapped_transform_configINS0_14default_configEdEEdPdS6_NS0_8identityIdEEEEvT1_mT2_T3_,"axG",@progbits,_ZN7rocprim17ROCPRIM_304000_NS6detail16transform_kernelINS1_24wrapped_transform_configINS0_14default_configEdEEdPdS6_NS0_8identityIdEEEEvT1_mT2_T3_,comdat
.Lfunc_end61:
	.size	_ZN7rocprim17ROCPRIM_304000_NS6detail16transform_kernelINS1_24wrapped_transform_configINS0_14default_configEdEEdPdS6_NS0_8identityIdEEEEvT1_mT2_T3_, .Lfunc_end61-_ZN7rocprim17ROCPRIM_304000_NS6detail16transform_kernelINS1_24wrapped_transform_configINS0_14default_configEdEEdPdS6_NS0_8identityIdEEEEvT1_mT2_T3_
                                        ; -- End function
	.section	.AMDGPU.csdata,"",@progbits
; Kernel info:
; codeLenInByte = 660
; NumSgprs: 20
; NumVgprs: 18
; NumAgprs: 0
; TotalNumVgprs: 18
; ScratchSize: 0
; MemoryBound: 1
; FloatMode: 240
; IeeeMode: 1
; LDSByteSize: 0 bytes/workgroup (compile time only)
; SGPRBlocks: 2
; VGPRBlocks: 2
; NumSGPRsForWavesPerEU: 20
; NumVGPRsForWavesPerEU: 18
; AccumOffset: 20
; Occupancy: 8
; WaveLimiterHint : 1
; COMPUTE_PGM_RSRC2:SCRATCH_EN: 0
; COMPUTE_PGM_RSRC2:USER_SGPR: 2
; COMPUTE_PGM_RSRC2:TRAP_HANDLER: 0
; COMPUTE_PGM_RSRC2:TGID_X_EN: 1
; COMPUTE_PGM_RSRC2:TGID_Y_EN: 0
; COMPUTE_PGM_RSRC2:TGID_Z_EN: 0
; COMPUTE_PGM_RSRC2:TIDIG_COMP_CNT: 0
; COMPUTE_PGM_RSRC3_GFX90A:ACCUM_OFFSET: 4
; COMPUTE_PGM_RSRC3_GFX90A:TG_SPLIT: 0
	.section	.text._ZN7rocprim17ROCPRIM_304000_NS6detail18single_scan_kernelILb0ENS1_19wrapped_scan_configINS0_14default_configEdEEPKdPdSt4plusIdEddEEvT1_mT4_T2_T3_,"axG",@progbits,_ZN7rocprim17ROCPRIM_304000_NS6detail18single_scan_kernelILb0ENS1_19wrapped_scan_configINS0_14default_configEdEEPKdPdSt4plusIdEddEEvT1_mT4_T2_T3_,comdat
	.protected	_ZN7rocprim17ROCPRIM_304000_NS6detail18single_scan_kernelILb0ENS1_19wrapped_scan_configINS0_14default_configEdEEPKdPdSt4plusIdEddEEvT1_mT4_T2_T3_ ; -- Begin function _ZN7rocprim17ROCPRIM_304000_NS6detail18single_scan_kernelILb0ENS1_19wrapped_scan_configINS0_14default_configEdEEPKdPdSt4plusIdEddEEvT1_mT4_T2_T3_
	.globl	_ZN7rocprim17ROCPRIM_304000_NS6detail18single_scan_kernelILb0ENS1_19wrapped_scan_configINS0_14default_configEdEEPKdPdSt4plusIdEddEEvT1_mT4_T2_T3_
	.p2align	8
	.type	_ZN7rocprim17ROCPRIM_304000_NS6detail18single_scan_kernelILb0ENS1_19wrapped_scan_configINS0_14default_configEdEEPKdPdSt4plusIdEddEEvT1_mT4_T2_T3_,@function
_ZN7rocprim17ROCPRIM_304000_NS6detail18single_scan_kernelILb0ENS1_19wrapped_scan_configINS0_14default_configEdEEPKdPdSt4plusIdEddEEvT1_mT4_T2_T3_: ; @_ZN7rocprim17ROCPRIM_304000_NS6detail18single_scan_kernelILb0ENS1_19wrapped_scan_configINS0_14default_configEdEEPKdPdSt4plusIdEddEEvT1_mT4_T2_T3_
; %bb.0:
	s_load_dwordx4 s[28:31], s[0:1], 0x0
	v_mov_b32_e32 v35, 0
	v_lshlrev_b32_e32 v34, 3, v0
	s_waitcnt lgkmcnt(0)
	s_load_dwordx2 s[36:37], s[28:29], 0x0
	v_lshl_add_u64 v[36:37], s[28:29], 0, v[34:35]
	v_cmp_gt_u32_e64 s[2:3], s30, v0
	s_waitcnt lgkmcnt(0)
	s_mov_b32 s38, s36
	s_mov_b32 s39, s37
	;; [unrolled: 1-line block ×28, first 2 shown]
	v_mov_b64_e32 v[2:3], s[36:37]
	v_mov_b64_e32 v[4:5], s[38:39]
	;; [unrolled: 1-line block ×16, first 2 shown]
	s_and_saveexec_b64 s[4:5], s[2:3]
	s_cbranch_execz .LBB62_2
; %bb.1:
	global_load_dwordx2 v[2:3], v[36:37], off
	v_mov_b32_e32 v4, s36
	v_mov_b32_e32 v5, s37
	;; [unrolled: 1-line block ×28, first 2 shown]
.LBB62_2:
	s_or_b64 exec, exec, s[4:5]
	v_or_b32_e32 v1, 0x100, v0
	v_cmp_gt_u32_e64 s[4:5], s30, v1
	s_and_saveexec_b64 s[6:7], s[4:5]
	s_cbranch_execz .LBB62_4
; %bb.3:
	global_load_dwordx2 v[4:5], v[36:37], off offset:2048
.LBB62_4:
	s_or_b64 exec, exec, s[6:7]
	v_or_b32_e32 v1, 0x200, v0
	v_cmp_gt_u32_e64 s[6:7], s30, v1
	s_and_saveexec_b64 s[8:9], s[6:7]
	s_cbranch_execz .LBB62_6
; %bb.5:
	v_add_co_u32_e32 v6, vcc, 0x1000, v36
	s_nop 1
	v_addc_co_u32_e32 v7, vcc, 0, v37, vcc
	global_load_dwordx2 v[6:7], v[6:7], off
.LBB62_6:
	s_or_b64 exec, exec, s[8:9]
	v_or_b32_e32 v1, 0x300, v0
	v_cmp_gt_u32_e64 s[8:9], s30, v1
	s_and_saveexec_b64 s[10:11], s[8:9]
	s_cbranch_execz .LBB62_8
; %bb.7:
	v_add_co_u32_e32 v8, vcc, 0x1000, v36
	s_nop 1
	v_addc_co_u32_e32 v9, vcc, 0, v37, vcc
	global_load_dwordx2 v[8:9], v[8:9], off offset:2048
.LBB62_8:
	s_or_b64 exec, exec, s[10:11]
	v_or_b32_e32 v1, 0x400, v0
	v_cmp_gt_u32_e64 s[10:11], s30, v1
	s_and_saveexec_b64 s[12:13], s[10:11]
	s_cbranch_execz .LBB62_10
; %bb.9:
	v_add_co_u32_e32 v10, vcc, 0x2000, v36
	s_nop 1
	v_addc_co_u32_e32 v11, vcc, 0, v37, vcc
	global_load_dwordx2 v[10:11], v[10:11], off
.LBB62_10:
	s_or_b64 exec, exec, s[12:13]
	v_or_b32_e32 v1, 0x500, v0
	v_cmp_gt_u32_e64 s[12:13], s30, v1
	s_and_saveexec_b64 s[14:15], s[12:13]
	s_cbranch_execz .LBB62_12
; %bb.11:
	v_add_co_u32_e32 v12, vcc, 0x2000, v36
	s_nop 1
	v_addc_co_u32_e32 v13, vcc, 0, v37, vcc
	global_load_dwordx2 v[12:13], v[12:13], off offset:2048
.LBB62_12:
	;; [unrolled: 22-line block ×6, first 2 shown]
	s_or_b64 exec, exec, s[34:35]
	v_or_b32_e32 v1, 0xe00, v0
	v_cmp_gt_u32_e64 s[30:31], s30, v1
	s_and_saveexec_b64 s[34:35], s[30:31]
	s_cbranch_execz .LBB62_30
; %bb.29:
	v_add_co_u32_e32 v30, vcc, 0x7000, v36
	s_nop 1
	v_addc_co_u32_e32 v31, vcc, 0, v37, vcc
	global_load_dwordx2 v[30:31], v[30:31], off
.LBB62_30:
	s_or_b64 exec, exec, s[34:35]
	s_movk_i32 s33, 0x70
	v_mad_u32_u24 v1, v0, s33, v34
	s_waitcnt vmcnt(0)
	ds_write2st64_b64 v34, v[2:3], v[4:5] offset1:4
	ds_write2st64_b64 v34, v[6:7], v[8:9] offset0:8 offset1:12
	ds_write2st64_b64 v34, v[10:11], v[12:13] offset0:16 offset1:20
	;; [unrolled: 1-line block ×6, first 2 shown]
	ds_write_b64 v34, v[30:31] offset:28672
	s_waitcnt lgkmcnt(0)
	s_barrier
	ds_read2_b64 v[2:5], v1 offset1:1
	ds_read2_b64 v[6:9], v1 offset0:2 offset1:3
	ds_read2_b64 v[10:13], v1 offset0:4 offset1:5
	;; [unrolled: 1-line block ×6, first 2 shown]
	ds_read_b64 v[30:31], v1 offset:112
	s_waitcnt lgkmcnt(7)
	v_add_f64 v[32:33], v[2:3], v[4:5]
	s_waitcnt lgkmcnt(6)
	v_add_f64 v[32:33], v[32:33], v[6:7]
	v_add_f64 v[32:33], v[32:33], v[8:9]
	s_waitcnt lgkmcnt(5)
	v_add_f64 v[32:33], v[32:33], v[10:11]
	;; [unrolled: 3-line block ×6, first 2 shown]
	v_lshrrev_b32_e32 v35, 2, v0
	v_add_f64 v[32:33], v[32:33], v[28:29]
	v_and_b32_e32 v35, 56, v35
	s_waitcnt lgkmcnt(0)
	v_add_f64 v[32:33], v[32:33], v[30:31]
	v_add_u32_e32 v35, v34, v35
	v_cmp_gt_u32_e32 vcc, 64, v0
	s_barrier
	ds_write_b64 v35, v[32:33]
	s_waitcnt lgkmcnt(0)
	s_barrier
	s_and_saveexec_b64 s[34:35], vcc
	s_cbranch_execz .LBB62_32
; %bb.31:
	v_lshlrev_b32_e32 v35, 2, v0
	v_lshrrev_b32_e32 v36, 3, v0
	v_add_lshl_u32 v35, v36, v35, 3
	ds_read2_b64 v[36:39], v35 offset1:1
	ds_read2_b64 v[40:43], v35 offset0:2 offset1:3
	v_mbcnt_lo_u32_b32 v44, -1, 0
	v_mbcnt_hi_u32_b32 v48, -1, v44
	v_and_b32_e32 v49, 15, v48
	s_waitcnt lgkmcnt(1)
	v_add_f64 v[44:45], v[36:37], v[38:39]
	s_waitcnt lgkmcnt(0)
	v_add_f64 v[44:45], v[44:45], v[40:41]
	v_add_f64 v[44:45], v[44:45], v[42:43]
	v_cmp_eq_u32_e32 vcc, 0, v49
	s_nop 0
	v_mov_b32_dpp v46, v44 row_shr:1 row_mask:0xf bank_mask:0xf
	v_mov_b32_dpp v47, v45 row_shr:1 row_mask:0xf bank_mask:0xf
	v_add_f64 v[46:47], v[44:45], v[46:47]
	v_cndmask_b32_e32 v45, v47, v45, vcc
	v_cndmask_b32_e32 v44, v46, v44, vcc
	v_cmp_lt_u32_e32 vcc, 1, v49
	v_mov_b32_dpp v47, v45 row_shr:2 row_mask:0xf bank_mask:0xf
	v_mov_b32_dpp v46, v44 row_shr:2 row_mask:0xf bank_mask:0xf
	v_add_f64 v[46:47], v[44:45], v[46:47]
	v_cndmask_b32_e32 v44, v44, v46, vcc
	v_cndmask_b32_e32 v45, v45, v47, vcc
	v_cmp_lt_u32_e32 vcc, 3, v49
	;; [unrolled: 6-line block ×3, first 2 shown]
	v_mov_b32_dpp v46, v44 row_shr:8 row_mask:0xf bank_mask:0xf
	v_mov_b32_dpp v47, v45 row_shr:8 row_mask:0xf bank_mask:0xf
	v_add_f64 v[46:47], v[44:45], v[46:47]
	v_cndmask_b32_e32 v44, v44, v46, vcc
	v_cndmask_b32_e32 v45, v45, v47, vcc
	v_and_b32_e32 v49, 16, v48
	v_mov_b32_dpp v46, v44 row_bcast:15 row_mask:0xf bank_mask:0xf
	v_mov_b32_dpp v47, v45 row_bcast:15 row_mask:0xf bank_mask:0xf
	v_add_f64 v[46:47], v[44:45], v[46:47]
	v_cmp_eq_u32_e32 vcc, 0, v49
	s_nop 1
	v_cndmask_b32_e32 v45, v47, v45, vcc
	v_cndmask_b32_e32 v44, v46, v44, vcc
	v_cmp_lt_u32_e32 vcc, 31, v48
	v_mov_b32_dpp v47, v45 row_bcast:31 row_mask:0xf bank_mask:0xf
	v_mov_b32_dpp v46, v44 row_bcast:31 row_mask:0xf bank_mask:0xf
	v_add_f64 v[46:47], v[44:45], v[46:47]
	v_cndmask_b32_e32 v45, v45, v47, vcc
	v_cndmask_b32_e32 v44, v44, v46, vcc
	v_add_u32_e32 v46, -1, v48
	v_and_b32_e32 v47, 64, v48
	v_cmp_lt_i32_e32 vcc, v46, v47
	s_nop 1
	v_cndmask_b32_e32 v46, v46, v48, vcc
	v_lshlrev_b32_e32 v46, 2, v46
	ds_bpermute_b32 v44, v46, v44
	ds_bpermute_b32 v45, v46, v45
	v_cmp_eq_u32_e32 vcc, 0, v0
	s_waitcnt lgkmcnt(0)
	v_add_f64 v[36:37], v[36:37], v[44:45]
	v_cndmask_b32_e32 v37, v37, v33, vcc
	v_cndmask_b32_e32 v36, v36, v32, vcc
	v_add_f64 v[38:39], v[38:39], v[36:37]
	ds_write2_b64 v35, v[36:37], v[38:39] offset1:1
	v_add_f64 v[36:37], v[40:41], v[38:39]
	v_add_f64 v[38:39], v[42:43], v[36:37]
	ds_write2_b64 v35, v[36:37], v[38:39] offset0:2 offset1:3
.LBB62_32:
	s_or_b64 exec, exec, s[34:35]
	v_cmp_eq_u32_e32 vcc, 0, v0
	v_cmp_ne_u32_e64 s[34:35], 0, v0
	s_waitcnt lgkmcnt(0)
	s_barrier
	s_and_saveexec_b64 s[36:37], s[34:35]
	s_cbranch_execz .LBB62_34
; %bb.33:
	v_add_u32_e32 v32, -1, v0
	v_lshrrev_b32_e32 v33, 5, v32
	v_add_lshl_u32 v32, v33, v32, 3
	ds_read_b64 v[32:33], v32
.LBB62_34:
	s_or_b64 exec, exec, s[36:37]
	s_waitcnt lgkmcnt(0)
	v_add_f64 v[32:33], v[2:3], v[32:33]
	v_cndmask_b32_e32 v3, v33, v3, vcc
	v_cndmask_b32_e32 v2, v32, v2, vcc
	v_add_f64 v[4:5], v[4:5], v[2:3]
	v_add_f64 v[6:7], v[6:7], v[4:5]
	v_add_f64 v[8:9], v[8:9], v[6:7]
	v_add_f64 v[10:11], v[10:11], v[8:9]
	v_add_f64 v[12:13], v[12:13], v[10:11]
	v_add_f64 v[14:15], v[14:15], v[12:13]
	v_add_f64 v[16:17], v[16:17], v[14:15]
	v_add_f64 v[18:19], v[18:19], v[16:17]
	v_add_f64 v[20:21], v[20:21], v[18:19]
	v_add_f64 v[22:23], v[22:23], v[20:21]
	v_add_f64 v[24:25], v[24:25], v[22:23]
	v_add_f64 v[26:27], v[26:27], v[24:25]
	v_add_f64 v[28:29], v[28:29], v[26:27]
	s_movk_i32 s33, 0xff90
	v_add_f64 v[30:31], v[30:31], v[28:29]
	s_barrier
	ds_write2_b64 v1, v[2:3], v[4:5] offset1:1
	ds_write2_b64 v1, v[6:7], v[8:9] offset0:2 offset1:3
	ds_write2_b64 v1, v[10:11], v[12:13] offset0:4 offset1:5
	;; [unrolled: 1-line block ×6, first 2 shown]
	ds_write_b64 v1, v[30:31] offset:112
	v_mad_i32_i24 v24, v0, s33, v1
	s_waitcnt lgkmcnt(0)
	s_barrier
	ds_read2st64_b64 v[20:23], v24 offset0:4 offset1:8
	ds_read2st64_b64 v[16:19], v24 offset0:12 offset1:20
	;; [unrolled: 1-line block ×6, first 2 shown]
	ds_read_b64 v[28:29], v34 offset:24576
	ds_read_b64 v[24:25], v24 offset:28672
	s_load_dwordx2 s[0:1], s[0:1], 0x18
	v_mov_b32_e32 v35, 0
	s_waitcnt lgkmcnt(0)
	v_lshl_add_u64 v[26:27], s[0:1], 0, v[34:35]
	s_and_saveexec_b64 s[0:1], s[2:3]
	s_cbranch_execnz .LBB62_50
; %bb.35:
	s_or_b64 exec, exec, s[0:1]
	s_and_saveexec_b64 s[0:1], s[4:5]
	s_cbranch_execnz .LBB62_51
.LBB62_36:
	s_or_b64 exec, exec, s[0:1]
	s_and_saveexec_b64 s[0:1], s[6:7]
	s_cbranch_execnz .LBB62_52
.LBB62_37:
	s_or_b64 exec, exec, s[0:1]
	s_and_saveexec_b64 s[0:1], s[8:9]
	s_cbranch_execnz .LBB62_53
.LBB62_38:
	s_or_b64 exec, exec, s[0:1]
	s_and_saveexec_b64 s[0:1], s[10:11]
	s_cbranch_execnz .LBB62_54
.LBB62_39:
	s_or_b64 exec, exec, s[0:1]
	s_and_saveexec_b64 s[0:1], s[12:13]
	s_cbranch_execnz .LBB62_55
.LBB62_40:
	s_or_b64 exec, exec, s[0:1]
	s_and_saveexec_b64 s[0:1], s[14:15]
	s_cbranch_execnz .LBB62_56
.LBB62_41:
	s_or_b64 exec, exec, s[0:1]
	s_and_saveexec_b64 s[0:1], s[16:17]
	s_cbranch_execnz .LBB62_57
.LBB62_42:
	s_or_b64 exec, exec, s[0:1]
	s_and_saveexec_b64 s[0:1], s[18:19]
	s_cbranch_execnz .LBB62_58
.LBB62_43:
	s_or_b64 exec, exec, s[0:1]
	s_and_saveexec_b64 s[0:1], s[20:21]
	s_cbranch_execnz .LBB62_59
.LBB62_44:
	s_or_b64 exec, exec, s[0:1]
	s_and_saveexec_b64 s[0:1], s[22:23]
	s_cbranch_execnz .LBB62_60
.LBB62_45:
	s_or_b64 exec, exec, s[0:1]
	s_and_saveexec_b64 s[0:1], s[24:25]
	s_cbranch_execnz .LBB62_61
.LBB62_46:
	s_or_b64 exec, exec, s[0:1]
	s_and_saveexec_b64 s[0:1], s[26:27]
	s_cbranch_execnz .LBB62_62
.LBB62_47:
	s_or_b64 exec, exec, s[0:1]
	s_and_saveexec_b64 s[0:1], s[28:29]
	s_cbranch_execnz .LBB62_63
.LBB62_48:
	s_or_b64 exec, exec, s[0:1]
	s_and_saveexec_b64 s[0:1], s[30:31]
	s_cbranch_execnz .LBB62_64
.LBB62_49:
	s_endpgm
.LBB62_50:
	ds_read_b64 v[30:31], v34
	s_waitcnt lgkmcnt(0)
	global_store_dwordx2 v[26:27], v[30:31], off
	s_or_b64 exec, exec, s[0:1]
	s_and_saveexec_b64 s[0:1], s[4:5]
	s_cbranch_execz .LBB62_36
.LBB62_51:
	global_store_dwordx2 v[26:27], v[20:21], off offset:2048
	s_or_b64 exec, exec, s[0:1]
	s_and_saveexec_b64 s[0:1], s[6:7]
	s_cbranch_execz .LBB62_37
.LBB62_52:
	v_add_co_u32_e32 v20, vcc, 0x1000, v26
	s_nop 1
	v_addc_co_u32_e32 v21, vcc, 0, v27, vcc
	global_store_dwordx2 v[20:21], v[22:23], off
	s_or_b64 exec, exec, s[0:1]
	s_and_saveexec_b64 s[0:1], s[8:9]
	s_cbranch_execz .LBB62_38
.LBB62_53:
	v_add_co_u32_e32 v20, vcc, 0x1000, v26
	s_nop 1
	v_addc_co_u32_e32 v21, vcc, 0, v27, vcc
	global_store_dwordx2 v[20:21], v[16:17], off offset:2048
	s_or_b64 exec, exec, s[0:1]
	s_and_saveexec_b64 s[0:1], s[10:11]
	s_cbranch_execz .LBB62_39
.LBB62_54:
	v_add_co_u32_e32 v16, vcc, 0x2000, v26
	s_nop 1
	v_addc_co_u32_e32 v17, vcc, 0, v27, vcc
	global_store_dwordx2 v[16:17], v[8:9], off
	s_or_b64 exec, exec, s[0:1]
	s_and_saveexec_b64 s[0:1], s[12:13]
	s_cbranch_execz .LBB62_40
.LBB62_55:
	v_add_co_u32_e32 v8, vcc, 0x2000, v26
	s_nop 1
	v_addc_co_u32_e32 v9, vcc, 0, v27, vcc
	global_store_dwordx2 v[8:9], v[18:19], off offset:2048
	s_or_b64 exec, exec, s[0:1]
	s_and_saveexec_b64 s[0:1], s[14:15]
	s_cbranch_execz .LBB62_41
.LBB62_56:
	v_add_co_u32_e32 v8, vcc, 0x3000, v26
	s_nop 1
	v_addc_co_u32_e32 v9, vcc, 0, v27, vcc
	global_store_dwordx2 v[8:9], v[12:13], off
	s_or_b64 exec, exec, s[0:1]
	s_and_saveexec_b64 s[0:1], s[16:17]
	s_cbranch_execz .LBB62_42
.LBB62_57:
	v_add_co_u32_e32 v8, vcc, 0x3000, v26
	s_nop 1
	v_addc_co_u32_e32 v9, vcc, 0, v27, vcc
	global_store_dwordx2 v[8:9], v[14:15], off offset:2048
	s_or_b64 exec, exec, s[0:1]
	s_and_saveexec_b64 s[0:1], s[18:19]
	s_cbranch_execz .LBB62_43
.LBB62_58:
	v_add_co_u32_e32 v8, vcc, 0x4000, v26
	s_nop 1
	v_addc_co_u32_e32 v9, vcc, 0, v27, vcc
	global_store_dwordx2 v[8:9], v[10:11], off
	s_or_b64 exec, exec, s[0:1]
	s_and_saveexec_b64 s[0:1], s[20:21]
	s_cbranch_execz .LBB62_44
.LBB62_59:
	v_add_co_u32_e32 v8, vcc, 0x4000, v26
	s_nop 1
	v_addc_co_u32_e32 v9, vcc, 0, v27, vcc
	global_store_dwordx2 v[8:9], v[4:5], off offset:2048
	s_or_b64 exec, exec, s[0:1]
	s_and_saveexec_b64 s[0:1], s[22:23]
	s_cbranch_execz .LBB62_45
.LBB62_60:
	v_add_co_u32_e32 v4, vcc, 0x5000, v26
	s_nop 1
	v_addc_co_u32_e32 v5, vcc, 0, v27, vcc
	global_store_dwordx2 v[4:5], v[6:7], off
	s_or_b64 exec, exec, s[0:1]
	s_and_saveexec_b64 s[0:1], s[24:25]
	s_cbranch_execz .LBB62_46
.LBB62_61:
	v_add_co_u32_e32 v4, vcc, 0x5000, v26
	s_nop 1
	v_addc_co_u32_e32 v5, vcc, 0, v27, vcc
	global_store_dwordx2 v[4:5], v[0:1], off offset:2048
	s_or_b64 exec, exec, s[0:1]
	s_and_saveexec_b64 s[0:1], s[26:27]
	s_cbranch_execz .LBB62_47
.LBB62_62:
	v_add_co_u32_e32 v0, vcc, 0x6000, v26
	s_nop 1
	v_addc_co_u32_e32 v1, vcc, 0, v27, vcc
	global_store_dwordx2 v[0:1], v[28:29], off
	s_or_b64 exec, exec, s[0:1]
	s_and_saveexec_b64 s[0:1], s[28:29]
	s_cbranch_execz .LBB62_48
.LBB62_63:
	v_add_co_u32_e32 v0, vcc, 0x6000, v26
	s_nop 1
	v_addc_co_u32_e32 v1, vcc, 0, v27, vcc
	global_store_dwordx2 v[0:1], v[2:3], off offset:2048
	s_or_b64 exec, exec, s[0:1]
	s_and_saveexec_b64 s[0:1], s[30:31]
	s_cbranch_execz .LBB62_49
.LBB62_64:
	v_add_co_u32_e32 v0, vcc, 0x7000, v26
	s_nop 1
	v_addc_co_u32_e32 v1, vcc, 0, v27, vcc
	global_store_dwordx2 v[0:1], v[24:25], off
	s_endpgm
	.section	.rodata,"a",@progbits
	.p2align	6, 0x0
	.amdhsa_kernel _ZN7rocprim17ROCPRIM_304000_NS6detail18single_scan_kernelILb0ENS1_19wrapped_scan_configINS0_14default_configEdEEPKdPdSt4plusIdEddEEvT1_mT4_T2_T3_
		.amdhsa_group_segment_fixed_size 30720
		.amdhsa_private_segment_fixed_size 0
		.amdhsa_kernarg_size 36
		.amdhsa_user_sgpr_count 2
		.amdhsa_user_sgpr_dispatch_ptr 0
		.amdhsa_user_sgpr_queue_ptr 0
		.amdhsa_user_sgpr_kernarg_segment_ptr 1
		.amdhsa_user_sgpr_dispatch_id 0
		.amdhsa_user_sgpr_kernarg_preload_length 0
		.amdhsa_user_sgpr_kernarg_preload_offset 0
		.amdhsa_user_sgpr_private_segment_size 0
		.amdhsa_uses_dynamic_stack 0
		.amdhsa_enable_private_segment 0
		.amdhsa_system_sgpr_workgroup_id_x 1
		.amdhsa_system_sgpr_workgroup_id_y 0
		.amdhsa_system_sgpr_workgroup_id_z 0
		.amdhsa_system_sgpr_workgroup_info 0
		.amdhsa_system_vgpr_workitem_id 0
		.amdhsa_next_free_vgpr 50
		.amdhsa_next_free_sgpr 68
		.amdhsa_accum_offset 52
		.amdhsa_reserve_vcc 1
		.amdhsa_float_round_mode_32 0
		.amdhsa_float_round_mode_16_64 0
		.amdhsa_float_denorm_mode_32 3
		.amdhsa_float_denorm_mode_16_64 3
		.amdhsa_dx10_clamp 1
		.amdhsa_ieee_mode 1
		.amdhsa_fp16_overflow 0
		.amdhsa_tg_split 0
		.amdhsa_exception_fp_ieee_invalid_op 0
		.amdhsa_exception_fp_denorm_src 0
		.amdhsa_exception_fp_ieee_div_zero 0
		.amdhsa_exception_fp_ieee_overflow 0
		.amdhsa_exception_fp_ieee_underflow 0
		.amdhsa_exception_fp_ieee_inexact 0
		.amdhsa_exception_int_div_zero 0
	.end_amdhsa_kernel
	.section	.text._ZN7rocprim17ROCPRIM_304000_NS6detail18single_scan_kernelILb0ENS1_19wrapped_scan_configINS0_14default_configEdEEPKdPdSt4plusIdEddEEvT1_mT4_T2_T3_,"axG",@progbits,_ZN7rocprim17ROCPRIM_304000_NS6detail18single_scan_kernelILb0ENS1_19wrapped_scan_configINS0_14default_configEdEEPKdPdSt4plusIdEddEEvT1_mT4_T2_T3_,comdat
.Lfunc_end62:
	.size	_ZN7rocprim17ROCPRIM_304000_NS6detail18single_scan_kernelILb0ENS1_19wrapped_scan_configINS0_14default_configEdEEPKdPdSt4plusIdEddEEvT1_mT4_T2_T3_, .Lfunc_end62-_ZN7rocprim17ROCPRIM_304000_NS6detail18single_scan_kernelILb0ENS1_19wrapped_scan_configINS0_14default_configEdEEPKdPdSt4plusIdEddEEvT1_mT4_T2_T3_
                                        ; -- End function
	.section	.AMDGPU.csdata,"",@progbits
; Kernel info:
; codeLenInByte = 2884
; NumSgprs: 74
; NumVgprs: 50
; NumAgprs: 0
; TotalNumVgprs: 50
; ScratchSize: 0
; MemoryBound: 1
; FloatMode: 240
; IeeeMode: 1
; LDSByteSize: 30720 bytes/workgroup (compile time only)
; SGPRBlocks: 9
; VGPRBlocks: 6
; NumSGPRsForWavesPerEU: 74
; NumVGPRsForWavesPerEU: 50
; AccumOffset: 52
; Occupancy: 2
; WaveLimiterHint : 0
; COMPUTE_PGM_RSRC2:SCRATCH_EN: 0
; COMPUTE_PGM_RSRC2:USER_SGPR: 2
; COMPUTE_PGM_RSRC2:TRAP_HANDLER: 0
; COMPUTE_PGM_RSRC2:TGID_X_EN: 1
; COMPUTE_PGM_RSRC2:TGID_Y_EN: 0
; COMPUTE_PGM_RSRC2:TGID_Z_EN: 0
; COMPUTE_PGM_RSRC2:TIDIG_COMP_CNT: 0
; COMPUTE_PGM_RSRC3_GFX90A:ACCUM_OFFSET: 12
; COMPUTE_PGM_RSRC3_GFX90A:TG_SPLIT: 0
	.section	.text._ZN2at6native32tensor_kernel_scan_innermost_dimIdSt4plusIdEEEvPT_PKS4_jjjS4_T0_,"axG",@progbits,_ZN2at6native32tensor_kernel_scan_innermost_dimIdSt4plusIdEEEvPT_PKS4_jjjS4_T0_,comdat
	.protected	_ZN2at6native32tensor_kernel_scan_innermost_dimIdSt4plusIdEEEvPT_PKS4_jjjS4_T0_ ; -- Begin function _ZN2at6native32tensor_kernel_scan_innermost_dimIdSt4plusIdEEEvPT_PKS4_jjjS4_T0_
	.globl	_ZN2at6native32tensor_kernel_scan_innermost_dimIdSt4plusIdEEEvPT_PKS4_jjjS4_T0_
	.p2align	8
	.type	_ZN2at6native32tensor_kernel_scan_innermost_dimIdSt4plusIdEEEvPT_PKS4_jjjS4_T0_,@function
_ZN2at6native32tensor_kernel_scan_innermost_dimIdSt4plusIdEEEvPT_PKS4_jjjS4_T0_: ; @_ZN2at6native32tensor_kernel_scan_innermost_dimIdSt4plusIdEEEvPT_PKS4_jjjS4_T0_
; %bb.0:
	s_load_dwordx8 s[12:19], s[0:1], 0x0
	s_load_dwordx2 s[20:21], s[0:1], 0x20
	v_bfe_u32 v2, v0, 10, 10
	s_waitcnt lgkmcnt(0)
	s_lshl_b32 s3, 2, s18
	v_mul_lo_u32 v1, s3, v2
	s_mul_hi_u32 s4, s16, s17
	s_mov_b32 s22, s16
	v_lshl_add_u32 v18, v1, 3, 0
	s_cmp_lg_u32 s4, 0
	s_mov_b64 s[4:5], -1
	s_cbranch_scc1 .LBB63_26
; %bb.1:
	s_load_dword s6, s[0:1], 0x3c
	s_add_u32 s4, s0, 48
	s_addc_u32 s5, s1, 0
	s_waitcnt lgkmcnt(0)
	s_lshr_b32 s6, s6, 16
	s_mul_i32 s19, s2, s6
	s_cmp_ge_u32 s19, s16
	s_cbranch_scc1 .LBB63_25
; %bb.2:
	s_load_dword s28, s[4:5], 0x0
	s_lshl_b32 s23, 1, s18
	s_cmp_lg_u32 s17, 0
	v_and_b32_e32 v1, 0x3ff, v0
	s_cselect_b64 s[4:5], -1, 0
	v_lshl_add_u32 v3, v1, 3, v18
	v_add_u32_e32 v17, -8, v18
	v_cndmask_b32_e64 v4, 0, 1, s[4:5]
	v_lshl_add_u32 v16, s23, 3, v3
	v_cmp_eq_u32_e64 s[8:9], 0, v1
	v_lshl_add_u32 v19, s3, 3, v17
	s_waitcnt lgkmcnt(0)
	s_mul_i32 s28, s28, s6
	s_add_i32 s29, s18, 1
	v_cmp_ne_u32_e64 s[4:5], 1, v4
	v_mov_b32_e32 v5, 0
	s_branch .LBB63_4
.LBB63_3:                               ;   in Loop: Header=BB63_4 Depth=1
	s_add_i32 s19, s19, s28
	s_cmp_ge_u32 s19, s16
	s_cbranch_scc1 .LBB63_25
.LBB63_4:                               ; =>This Loop Header: Depth=1
                                        ;     Child Loop BB63_7 Depth 2
                                        ;       Child Loop BB63_16 Depth 3
	s_and_b64 vcc, exec, s[4:5]
	s_cbranch_vccnz .LBB63_3
; %bb.5:                                ;   in Loop: Header=BB63_4 Depth=1
	v_add_u32_e32 v10, s19, v2
	v_mul_lo_u32 v4, v10, s17
	v_lshlrev_b64 v[8:9], 3, v[4:5]
	v_lshl_add_u64 v[6:7], s[14:15], 0, v[8:9]
	v_lshl_add_u64 v[8:9], s[12:13], 0, v[8:9]
	v_cmp_gt_u32_e32 vcc, s16, v10
	v_cmp_le_u32_e64 s[6:7], s16, v10
	s_mov_b32 s30, 0
	v_mov_b64_e32 v[12:13], s[20:21]
	s_branch .LBB63_7
.LBB63_6:                               ;   in Loop: Header=BB63_7 Depth=2
	s_or_b64 exec, exec, s[24:25]
	ds_read_b64 v[12:13], v19
	s_add_i32 s30, s30, s3
	s_cmp_ge_u32 s30, s17
	s_waitcnt lgkmcnt(0)
	s_barrier
	s_cbranch_scc1 .LBB63_3
.LBB63_7:                               ;   Parent Loop BB63_4 Depth=1
                                        ; =>  This Loop Header: Depth=2
                                        ;       Child Loop BB63_16 Depth 3
	v_add_u32_e32 v4, s30, v1
	v_add_u32_e32 v10, s23, v4
	s_and_saveexec_b64 s[24:25], vcc
	s_cbranch_execz .LBB63_14
; %bb.8:                                ;   in Loop: Header=BB63_7 Depth=2
	v_cmp_gt_u32_e64 s[10:11], s17, v4
	v_mov_b64_e32 v[14:15], s[20:21]
	s_and_saveexec_b64 s[26:27], s[10:11]
	s_cbranch_execz .LBB63_10
; %bb.9:                                ;   in Loop: Header=BB63_7 Depth=2
	v_lshl_add_u64 v[14:15], v[4:5], 3, v[6:7]
	global_load_dwordx2 v[14:15], v[14:15], off
.LBB63_10:                              ;   in Loop: Header=BB63_7 Depth=2
	s_or_b64 exec, exec, s[26:27]
	s_waitcnt vmcnt(0)
	ds_write_b64 v3, v[14:15]
	v_cmp_gt_u32_e64 s[10:11], s17, v10
	v_mov_b64_e32 v[14:15], s[20:21]
	s_and_saveexec_b64 s[26:27], s[10:11]
	s_cbranch_execz .LBB63_12
; %bb.11:                               ;   in Loop: Header=BB63_7 Depth=2
	v_mov_b32_e32 v11, v5
	v_lshl_add_u64 v[14:15], v[10:11], 3, v[6:7]
	global_load_dwordx2 v[14:15], v[14:15], off
.LBB63_12:                              ;   in Loop: Header=BB63_7 Depth=2
	s_or_b64 exec, exec, s[26:27]
	s_waitcnt vmcnt(0)
	ds_write_b64 v16, v[14:15]
	s_and_b64 exec, exec, s[8:9]
	s_cbranch_execz .LBB63_14
; %bb.13:                               ;   in Loop: Header=BB63_7 Depth=2
	ds_read_b64 v[14:15], v18
	s_waitcnt lgkmcnt(0)
	v_add_f64 v[12:13], v[12:13], v[14:15]
	ds_write_b64 v18, v[12:13]
.LBB63_14:                              ;   in Loop: Header=BB63_7 Depth=2
	s_or_b64 exec, exec, s[24:25]
	s_mov_b64 s[24:25], 0
	v_mov_b32_e32 v11, 0
	s_waitcnt lgkmcnt(0)
	s_barrier
	s_branch .LBB63_16
.LBB63_15:                              ;   in Loop: Header=BB63_16 Depth=3
	s_or_b64 exec, exec, s[10:11]
	v_cmp_eq_u32_e64 s[10:11], s29, v11
	s_or_b64 s[24:25], s[10:11], s[24:25]
	s_waitcnt lgkmcnt(0)
	s_barrier
	s_andn2_b64 exec, exec, s[24:25]
	s_cbranch_execz .LBB63_20
.LBB63_16:                              ;   Parent Loop BB63_4 Depth=1
                                        ;     Parent Loop BB63_7 Depth=2
                                        ; =>    This Inner Loop Header: Depth=3
	v_add_u32_e32 v12, 1, v11
	s_and_saveexec_b64 s[10:11], s[6:7]
	s_xor_b64 s[10:11], exec, s[10:11]
; %bb.17:                               ;   in Loop: Header=BB63_16 Depth=3
	v_add_u32_e32 v11, 1, v11
                                        ; implicit-def: $vgpr12
; %bb.18:                               ;   in Loop: Header=BB63_16 Depth=3
	s_andn2_saveexec_b64 s[10:11], s[10:11]
	s_cbranch_execz .LBB63_15
; %bb.19:                               ;   in Loop: Header=BB63_16 Depth=3
	v_lshlrev_b32_e64 v13, v11, 1
	v_lshrrev_b32_e32 v14, v11, v1
	v_bfm_b32 v11, v11, 0
	v_lshl_or_b32 v13, v14, v12, v13
	v_and_b32_e32 v11, v11, v1
	v_lshlrev_b32_e32 v13, 3, v13
	v_lshlrev_b32_e32 v11, 3, v11
	v_add3_u32 v11, v18, v13, v11
	v_add_u32_e32 v13, v17, v13
	ds_read_b64 v[14:15], v11
	ds_read_b64 v[20:21], v13
	s_waitcnt lgkmcnt(0)
	v_add_f64 v[14:15], v[14:15], v[20:21]
	ds_write_b64 v11, v[14:15]
	v_mov_b32_e32 v11, v12
	s_branch .LBB63_15
.LBB63_20:                              ;   in Loop: Header=BB63_7 Depth=2
	s_or_b64 exec, exec, s[24:25]
	s_and_saveexec_b64 s[24:25], vcc
	s_cbranch_execz .LBB63_6
; %bb.21:                               ;   in Loop: Header=BB63_7 Depth=2
	v_cmp_gt_u32_e64 s[10:11], s17, v4
	s_and_saveexec_b64 s[26:27], s[10:11]
	s_cbranch_execz .LBB63_23
; %bb.22:                               ;   in Loop: Header=BB63_7 Depth=2
	ds_read_b64 v[12:13], v3
	v_lshl_add_u64 v[14:15], v[4:5], 3, v[8:9]
	s_waitcnt lgkmcnt(0)
	global_store_dwordx2 v[14:15], v[12:13], off
.LBB63_23:                              ;   in Loop: Header=BB63_7 Depth=2
	s_or_b64 exec, exec, s[26:27]
	v_cmp_gt_u32_e64 s[10:11], s17, v10
	s_and_b64 exec, exec, s[10:11]
	s_cbranch_execz .LBB63_6
; %bb.24:                               ;   in Loop: Header=BB63_7 Depth=2
	ds_read_b64 v[12:13], v16
	v_mov_b32_e32 v11, v5
	v_lshl_add_u64 v[10:11], v[10:11], 3, v[8:9]
	s_waitcnt lgkmcnt(0)
	global_store_dwordx2 v[10:11], v[12:13], off
	s_branch .LBB63_6
.LBB63_25:
	s_mov_b64 s[4:5], 0
.LBB63_26:
	s_andn2_b64 vcc, exec, s[4:5]
	s_cbranch_vccnz .LBB63_53
; %bb.27:
	s_load_dword s3, s[0:1], 0x3c
	s_add_u32 s4, s0, 48
	s_mov_b32 s23, 0
	s_addc_u32 s5, s1, 0
	v_mov_b64_e32 v[4:5], s[22:23]
	s_waitcnt lgkmcnt(0)
	s_lshr_b32 s0, s3, 16
	s_mul_hi_u32 s9, s0, s2
	s_mul_i32 s8, s0, s2
	v_cmp_ge_u64_e32 vcc, s[8:9], v[4:5]
	s_cbranch_vccnz .LBB63_53
; %bb.28:
	s_lshl_b32 s10, 1, s18
	s_load_dword s4, s[4:5], 0x0
	s_and_b32 s6, 0xffff, s0
	s_ashr_i32 s11, s10, 31
	s_cmp_lg_u32 s17, 0
	s_mov_b32 s24, s17
	v_and_b32_e32 v0, 0x3ff, v0
	s_cselect_b64 s[2:3], -1, 0
	s_lshl_b64 s[16:17], s[10:11], 1
	v_mov_b32_e32 v3, 0
	v_lshl_add_u32 v19, v0, 3, v18
	s_lshl_b32 s5, s16, 3
	v_cndmask_b32_e64 v4, 0, 1, s[2:3]
	s_mov_b32 s25, s23
	v_mov_b32_e32 v1, v3
	v_lshl_add_u32 v20, s10, 3, v19
	v_cmp_eq_u32_e64 s[0:1], 0, v0
	v_add3_u32 v21, v18, s5, -8
	s_waitcnt lgkmcnt(0)
	s_mul_i32 s33, s4, s6
	s_add_i32 s34, s18, 1
	v_cmp_ne_u32_e64 s[2:3], 1, v4
	v_mov_b64_e32 v[4:5], s[22:23]
	s_branch .LBB63_30
.LBB63_29:                              ;   in Loop: Header=BB63_30 Depth=1
	s_add_u32 s8, s8, s33
	s_addc_u32 s9, s9, 0
	v_cmp_ge_u64_e32 vcc, s[8:9], v[4:5]
	s_cbranch_vccnz .LBB63_53
.LBB63_30:                              ; =>This Loop Header: Depth=1
                                        ;     Child Loop BB63_33 Depth 2
                                        ;       Child Loop BB63_43 Depth 3
	s_and_b64 vcc, exec, s[2:3]
	s_cbranch_vccnz .LBB63_29
; %bb.31:                               ;   in Loop: Header=BB63_30 Depth=1
	v_lshl_add_u64 v[10:11], s[8:9], 0, v[2:3]
	v_mad_u64_u32 v[6:7], s[4:5], v10, s24, 0
	v_mov_b32_e32 v8, v7
	v_mad_u64_u32 v[8:9], s[4:5], v11, s24, v[8:9]
	v_mov_b32_e32 v7, v8
	v_lshlrev_b64 v[8:9], 3, v[6:7]
	v_lshl_add_u64 v[6:7], s[14:15], 0, v[8:9]
	v_lshl_add_u64 v[8:9], s[12:13], 0, v[8:9]
	v_cmp_gt_u64_e64 s[4:5], s[22:23], v[10:11]
	v_cmp_le_u64_e64 s[6:7], s[22:23], v[10:11]
	s_mov_b64 s[18:19], 0
	v_mov_b64_e32 v[14:15], s[20:21]
	s_branch .LBB63_33
.LBB63_32:                              ;   in Loop: Header=BB63_33 Depth=2
	s_or_b64 exec, exec, s[26:27]
	ds_read_b64 v[14:15], v21
	s_add_u32 s18, s18, s16
	s_addc_u32 s19, s19, s17
	v_mov_b64_e32 v[10:11], s[24:25]
	v_cmp_ge_u64_e32 vcc, s[18:19], v[10:11]
	s_waitcnt lgkmcnt(0)
	s_barrier
	s_cbranch_vccnz .LBB63_29
.LBB63_33:                              ;   Parent Loop BB63_30 Depth=1
                                        ; =>  This Loop Header: Depth=2
                                        ;       Child Loop BB63_43 Depth 3
	v_lshl_add_u64 v[12:13], s[18:19], 0, v[0:1]
	v_lshl_add_u64 v[10:11], v[12:13], 0, s[10:11]
	s_and_saveexec_b64 s[26:27], s[4:5]
	s_cbranch_execz .LBB63_40
; %bb.34:                               ;   in Loop: Header=BB63_33 Depth=2
	v_cmp_gt_u64_e32 vcc, s[24:25], v[12:13]
	v_mov_b64_e32 v[16:17], s[20:21]
	s_and_saveexec_b64 s[28:29], vcc
	s_cbranch_execz .LBB63_36
; %bb.35:                               ;   in Loop: Header=BB63_33 Depth=2
	v_lshl_add_u64 v[16:17], v[12:13], 3, v[6:7]
	global_load_dwordx2 v[16:17], v[16:17], off
.LBB63_36:                              ;   in Loop: Header=BB63_33 Depth=2
	s_or_b64 exec, exec, s[28:29]
	s_waitcnt vmcnt(0)
	ds_write_b64 v19, v[16:17]
	v_cmp_gt_u64_e32 vcc, s[24:25], v[10:11]
	v_mov_b64_e32 v[16:17], s[20:21]
	s_and_saveexec_b64 s[28:29], vcc
	s_cbranch_execz .LBB63_38
; %bb.37:                               ;   in Loop: Header=BB63_33 Depth=2
	v_lshl_add_u64 v[16:17], v[10:11], 3, v[6:7]
	global_load_dwordx2 v[16:17], v[16:17], off
.LBB63_38:                              ;   in Loop: Header=BB63_33 Depth=2
	s_or_b64 exec, exec, s[28:29]
	s_waitcnt vmcnt(0)
	ds_write_b64 v20, v[16:17]
	s_and_b64 exec, exec, s[0:1]
	s_cbranch_execz .LBB63_40
; %bb.39:                               ;   in Loop: Header=BB63_33 Depth=2
	ds_read_b64 v[16:17], v18
	s_waitcnt lgkmcnt(0)
	v_add_f64 v[14:15], v[14:15], v[16:17]
	ds_write_b64 v18, v[14:15]
.LBB63_40:                              ;   in Loop: Header=BB63_33 Depth=2
	s_or_b64 exec, exec, s[26:27]
	s_mov_b64 s[26:27], 0
	v_mov_b32_e32 v23, 0
	s_waitcnt lgkmcnt(0)
	s_barrier
	s_branch .LBB63_43
.LBB63_41:                              ;   in Loop: Header=BB63_43 Depth=3
	s_or_b64 exec, exec, s[30:31]
	v_lshrrev_b32_e32 v15, v23, v0
	v_lshl_or_b32 v14, v15, v22, v14
	v_lshl_add_u32 v14, v14, 3, v18
	v_lshl_add_u32 v23, v16, 3, v14
	v_add_u32_e32 v16, -8, v14
	ds_read_b64 v[14:15], v23
	ds_read_b64 v[16:17], v16
	s_waitcnt lgkmcnt(0)
	v_add_f64 v[14:15], v[14:15], v[16:17]
	ds_write_b64 v23, v[14:15]
.LBB63_42:                              ;   in Loop: Header=BB63_43 Depth=3
	s_or_b64 exec, exec, s[28:29]
	v_cmp_eq_u32_e32 vcc, s34, v22
	s_or_b64 s[26:27], vcc, s[26:27]
	v_mov_b32_e32 v23, v22
	s_waitcnt lgkmcnt(0)
	s_barrier
	s_andn2_b64 exec, exec, s[26:27]
	s_cbranch_execz .LBB63_48
.LBB63_43:                              ;   Parent Loop BB63_30 Depth=1
                                        ;     Parent Loop BB63_33 Depth=2
                                        ; =>    This Inner Loop Header: Depth=3
	v_add_u32_e32 v22, 1, v23
	s_and_saveexec_b64 s[28:29], s[6:7]
	s_xor_b64 s[28:29], exec, s[28:29]
; %bb.44:                               ;   in Loop: Header=BB63_43 Depth=3
	v_add_u32_e32 v22, 1, v23
                                        ; implicit-def: $vgpr23
; %bb.45:                               ;   in Loop: Header=BB63_43 Depth=3
	s_andn2_saveexec_b64 s[28:29], s[28:29]
	s_cbranch_execz .LBB63_42
; %bb.46:                               ;   in Loop: Header=BB63_43 Depth=3
	v_lshlrev_b32_e64 v14, v23, 1
	v_ashrrev_i32_e32 v15, 31, v14
	v_cmp_ge_u64_e32 vcc, v[0:1], v[14:15]
	v_mov_b64_e32 v[16:17], v[0:1]
	s_and_saveexec_b64 s[30:31], vcc
	s_cbranch_execz .LBB63_41
; %bb.47:                               ;   in Loop: Header=BB63_43 Depth=3
	v_cvt_f32_u32_e32 v15, v14
	v_sub_u32_e32 v16, 0, v14
	v_rcp_iflag_f32_e32 v15, v15
	s_nop 0
	v_mul_f32_e32 v15, 0x4f7ffffe, v15
	v_cvt_u32_f32_e32 v15, v15
	v_mul_lo_u32 v16, v16, v15
	v_mul_hi_u32 v16, v15, v16
	v_add_u32_e32 v15, v15, v16
	v_mul_hi_u32 v15, v0, v15
	v_mul_lo_u32 v15, v15, v14
	v_sub_u32_e32 v15, v0, v15
	v_sub_u32_e32 v16, v15, v14
	v_cmp_ge_u32_e32 vcc, v15, v14
	s_nop 1
	v_cndmask_b32_e32 v15, v15, v16, vcc
	v_sub_u32_e32 v16, v15, v14
	v_cmp_ge_u32_e32 vcc, v15, v14
	s_nop 1
	v_cndmask_b32_e32 v16, v15, v16, vcc
	s_branch .LBB63_41
.LBB63_48:                              ;   in Loop: Header=BB63_33 Depth=2
	s_or_b64 exec, exec, s[26:27]
	s_and_saveexec_b64 s[26:27], s[4:5]
	s_cbranch_execz .LBB63_32
; %bb.49:                               ;   in Loop: Header=BB63_33 Depth=2
	v_cmp_gt_u64_e32 vcc, s[24:25], v[12:13]
	s_and_saveexec_b64 s[28:29], vcc
	s_cbranch_execz .LBB63_51
; %bb.50:                               ;   in Loop: Header=BB63_33 Depth=2
	ds_read_b64 v[14:15], v19
	v_lshl_add_u64 v[12:13], v[12:13], 3, v[8:9]
	s_waitcnt lgkmcnt(0)
	global_store_dwordx2 v[12:13], v[14:15], off
.LBB63_51:                              ;   in Loop: Header=BB63_33 Depth=2
	s_or_b64 exec, exec, s[28:29]
	v_cmp_gt_u64_e32 vcc, s[24:25], v[10:11]
	s_and_b64 exec, exec, vcc
	s_cbranch_execz .LBB63_32
; %bb.52:                               ;   in Loop: Header=BB63_33 Depth=2
	ds_read_b64 v[12:13], v20
	v_lshl_add_u64 v[10:11], v[10:11], 3, v[8:9]
	s_waitcnt lgkmcnt(0)
	global_store_dwordx2 v[10:11], v[12:13], off
	s_branch .LBB63_32
.LBB63_53:
	s_endpgm
	.section	.rodata,"a",@progbits
	.p2align	6, 0x0
	.amdhsa_kernel _ZN2at6native32tensor_kernel_scan_innermost_dimIdSt4plusIdEEEvPT_PKS4_jjjS4_T0_
		.amdhsa_group_segment_fixed_size 0
		.amdhsa_private_segment_fixed_size 0
		.amdhsa_kernarg_size 304
		.amdhsa_user_sgpr_count 2
		.amdhsa_user_sgpr_dispatch_ptr 0
		.amdhsa_user_sgpr_queue_ptr 0
		.amdhsa_user_sgpr_kernarg_segment_ptr 1
		.amdhsa_user_sgpr_dispatch_id 0
		.amdhsa_user_sgpr_kernarg_preload_length 0
		.amdhsa_user_sgpr_kernarg_preload_offset 0
		.amdhsa_user_sgpr_private_segment_size 0
		.amdhsa_uses_dynamic_stack 0
		.amdhsa_enable_private_segment 0
		.amdhsa_system_sgpr_workgroup_id_x 1
		.amdhsa_system_sgpr_workgroup_id_y 0
		.amdhsa_system_sgpr_workgroup_id_z 0
		.amdhsa_system_sgpr_workgroup_info 0
		.amdhsa_system_vgpr_workitem_id 1
		.amdhsa_next_free_vgpr 24
		.amdhsa_next_free_sgpr 35
		.amdhsa_accum_offset 24
		.amdhsa_reserve_vcc 1
		.amdhsa_float_round_mode_32 0
		.amdhsa_float_round_mode_16_64 0
		.amdhsa_float_denorm_mode_32 3
		.amdhsa_float_denorm_mode_16_64 3
		.amdhsa_dx10_clamp 1
		.amdhsa_ieee_mode 1
		.amdhsa_fp16_overflow 0
		.amdhsa_tg_split 0
		.amdhsa_exception_fp_ieee_invalid_op 0
		.amdhsa_exception_fp_denorm_src 0
		.amdhsa_exception_fp_ieee_div_zero 0
		.amdhsa_exception_fp_ieee_overflow 0
		.amdhsa_exception_fp_ieee_underflow 0
		.amdhsa_exception_fp_ieee_inexact 0
		.amdhsa_exception_int_div_zero 0
	.end_amdhsa_kernel
	.section	.text._ZN2at6native32tensor_kernel_scan_innermost_dimIdSt4plusIdEEEvPT_PKS4_jjjS4_T0_,"axG",@progbits,_ZN2at6native32tensor_kernel_scan_innermost_dimIdSt4plusIdEEEvPT_PKS4_jjjS4_T0_,comdat
.Lfunc_end63:
	.size	_ZN2at6native32tensor_kernel_scan_innermost_dimIdSt4plusIdEEEvPT_PKS4_jjjS4_T0_, .Lfunc_end63-_ZN2at6native32tensor_kernel_scan_innermost_dimIdSt4plusIdEEEvPT_PKS4_jjjS4_T0_
                                        ; -- End function
	.section	.AMDGPU.csdata,"",@progbits
; Kernel info:
; codeLenInByte = 1648
; NumSgprs: 41
; NumVgprs: 24
; NumAgprs: 0
; TotalNumVgprs: 24
; ScratchSize: 0
; MemoryBound: 0
; FloatMode: 240
; IeeeMode: 1
; LDSByteSize: 0 bytes/workgroup (compile time only)
; SGPRBlocks: 5
; VGPRBlocks: 2
; NumSGPRsForWavesPerEU: 41
; NumVGPRsForWavesPerEU: 24
; AccumOffset: 24
; Occupancy: 8
; WaveLimiterHint : 0
; COMPUTE_PGM_RSRC2:SCRATCH_EN: 0
; COMPUTE_PGM_RSRC2:USER_SGPR: 2
; COMPUTE_PGM_RSRC2:TRAP_HANDLER: 0
; COMPUTE_PGM_RSRC2:TGID_X_EN: 1
; COMPUTE_PGM_RSRC2:TGID_Y_EN: 0
; COMPUTE_PGM_RSRC2:TGID_Z_EN: 0
; COMPUTE_PGM_RSRC2:TIDIG_COMP_CNT: 1
; COMPUTE_PGM_RSRC3_GFX90A:ACCUM_OFFSET: 5
; COMPUTE_PGM_RSRC3_GFX90A:TG_SPLIT: 0
	.section	.text._ZN2at6native28tensor_kernel_scan_outer_dimIdjSt4plusIdEEEvPT_PKS4_jjjS4_T1_,"axG",@progbits,_ZN2at6native28tensor_kernel_scan_outer_dimIdjSt4plusIdEEEvPT_PKS4_jjjS4_T1_,comdat
	.protected	_ZN2at6native28tensor_kernel_scan_outer_dimIdjSt4plusIdEEEvPT_PKS4_jjjS4_T1_ ; -- Begin function _ZN2at6native28tensor_kernel_scan_outer_dimIdjSt4plusIdEEEvPT_PKS4_jjjS4_T1_
	.globl	_ZN2at6native28tensor_kernel_scan_outer_dimIdjSt4plusIdEEEvPT_PKS4_jjjS4_T1_
	.p2align	8
	.type	_ZN2at6native28tensor_kernel_scan_outer_dimIdjSt4plusIdEEEvPT_PKS4_jjjS4_T1_,@function
_ZN2at6native28tensor_kernel_scan_outer_dimIdjSt4plusIdEEEvPT_PKS4_jjjS4_T1_: ; @_ZN2at6native28tensor_kernel_scan_outer_dimIdjSt4plusIdEEEvPT_PKS4_jjjS4_T1_
; %bb.0:
	s_load_dwordx4 s[8:11], s[0:1], 0x10
	s_waitcnt lgkmcnt(0)
	s_cmp_ge_u32 s2, s8
	s_cbranch_scc1 .LBB64_9
; %bb.1:
	s_load_dword s11, s[0:1], 0x30
	s_load_dword s4, s[0:1], 0x3c
	s_load_dwordx4 s[12:15], s[0:1], 0x0
	s_load_dwordx2 s[6:7], s[0:1], 0x20
	s_add_u32 s16, s0, 48
	s_addc_u32 s17, s1, 0
	s_waitcnt lgkmcnt(0)
	s_and_b32 s28, s4, 0xffff
	s_mul_i32 s3, s3, s28
	s_cmp_lg_u32 s10, 0
	v_add_u32_e32 v6, s3, v0
	s_mul_i32 s3, s2, s10
	s_cselect_b64 s[4:5], -1, 0
	s_mov_b32 s19, 0
	s_mov_b32 s18, s9
	s_mul_i32 s22, s3, s9
	s_mul_i32 s3, s11, s10
	v_cndmask_b32_e64 v0, 0, 1, s[4:5]
	v_cmp_gt_u32_e64 s[0:1], s9, v6
	s_mul_i32 s3, s3, s9
	s_lshl_b64 s[20:21], s[18:19], 3
	v_cmp_ne_u32_e64 s[4:5], 1, v0
	v_mov_b32_e32 v1, 0
	s_mov_b32 s18, s22
	s_branch .LBB64_3
.LBB64_2:                               ;   in Loop: Header=BB64_3 Depth=1
	s_or_b64 exec, exec, s[22:23]
	s_add_i32 s2, s11, s2
	s_add_i32 s18, s18, s3
	s_cmp_ge_u32 s2, s8
	s_cbranch_scc1 .LBB64_9
.LBB64_3:                               ; =>This Loop Header: Depth=1
                                        ;     Child Loop BB64_6 Depth 2
                                        ;       Child Loop BB64_8 Depth 3
	s_and_saveexec_b64 s[22:23], s[0:1]
	s_cbranch_execz .LBB64_2
; %bb.4:                                ;   in Loop: Header=BB64_3 Depth=1
	s_load_dword s29, s[16:17], 0x4
	s_lshl_b64 s[24:25], s[18:19], 3
	s_mov_b64 s[26:27], 0
	v_mov_b32_e32 v0, v6
	s_waitcnt lgkmcnt(0)
	s_mul_i32 s29, s29, s28
	s_branch .LBB64_6
.LBB64_5:                               ;   in Loop: Header=BB64_6 Depth=2
	v_add_u32_e32 v0, s29, v0
	v_cmp_le_u32_e32 vcc, s9, v0
	s_or_b64 s[26:27], vcc, s[26:27]
	s_andn2_b64 exec, exec, s[26:27]
	s_cbranch_execz .LBB64_2
.LBB64_6:                               ;   Parent Loop BB64_3 Depth=1
                                        ; =>  This Loop Header: Depth=2
                                        ;       Child Loop BB64_8 Depth 3
	s_and_b64 vcc, exec, s[4:5]
	s_cbranch_vccnz .LBB64_5
; %bb.7:                                ;   in Loop: Header=BB64_6 Depth=2
	v_lshl_add_u64 v[2:3], v[0:1], 3, s[24:25]
	v_mov_b64_e32 v[4:5], s[6:7]
	s_mov_b32 s30, s10
.LBB64_8:                               ;   Parent Loop BB64_3 Depth=1
                                        ;     Parent Loop BB64_6 Depth=2
                                        ; =>    This Inner Loop Header: Depth=3
	v_lshl_add_u64 v[8:9], s[14:15], 0, v[2:3]
	global_load_dwordx2 v[8:9], v[8:9], off
	s_add_i32 s30, s30, -1
	v_lshl_add_u64 v[10:11], s[12:13], 0, v[2:3]
	v_lshl_add_u64 v[2:3], v[2:3], 0, s[20:21]
	s_cmp_eq_u32 s30, 0
	s_waitcnt vmcnt(0)
	v_add_f64 v[4:5], v[4:5], v[8:9]
	global_store_dwordx2 v[10:11], v[4:5], off
	s_cbranch_scc0 .LBB64_8
	s_branch .LBB64_5
.LBB64_9:
	s_endpgm
	.section	.rodata,"a",@progbits
	.p2align	6, 0x0
	.amdhsa_kernel _ZN2at6native28tensor_kernel_scan_outer_dimIdjSt4plusIdEEEvPT_PKS4_jjjS4_T1_
		.amdhsa_group_segment_fixed_size 0
		.amdhsa_private_segment_fixed_size 0
		.amdhsa_kernarg_size 304
		.amdhsa_user_sgpr_count 2
		.amdhsa_user_sgpr_dispatch_ptr 0
		.amdhsa_user_sgpr_queue_ptr 0
		.amdhsa_user_sgpr_kernarg_segment_ptr 1
		.amdhsa_user_sgpr_dispatch_id 0
		.amdhsa_user_sgpr_kernarg_preload_length 0
		.amdhsa_user_sgpr_kernarg_preload_offset 0
		.amdhsa_user_sgpr_private_segment_size 0
		.amdhsa_uses_dynamic_stack 0
		.amdhsa_enable_private_segment 0
		.amdhsa_system_sgpr_workgroup_id_x 1
		.amdhsa_system_sgpr_workgroup_id_y 1
		.amdhsa_system_sgpr_workgroup_id_z 0
		.amdhsa_system_sgpr_workgroup_info 0
		.amdhsa_system_vgpr_workitem_id 0
		.amdhsa_next_free_vgpr 12
		.amdhsa_next_free_sgpr 31
		.amdhsa_accum_offset 12
		.amdhsa_reserve_vcc 1
		.amdhsa_float_round_mode_32 0
		.amdhsa_float_round_mode_16_64 0
		.amdhsa_float_denorm_mode_32 3
		.amdhsa_float_denorm_mode_16_64 3
		.amdhsa_dx10_clamp 1
		.amdhsa_ieee_mode 1
		.amdhsa_fp16_overflow 0
		.amdhsa_tg_split 0
		.amdhsa_exception_fp_ieee_invalid_op 0
		.amdhsa_exception_fp_denorm_src 0
		.amdhsa_exception_fp_ieee_div_zero 0
		.amdhsa_exception_fp_ieee_overflow 0
		.amdhsa_exception_fp_ieee_underflow 0
		.amdhsa_exception_fp_ieee_inexact 0
		.amdhsa_exception_int_div_zero 0
	.end_amdhsa_kernel
	.section	.text._ZN2at6native28tensor_kernel_scan_outer_dimIdjSt4plusIdEEEvPT_PKS4_jjjS4_T1_,"axG",@progbits,_ZN2at6native28tensor_kernel_scan_outer_dimIdjSt4plusIdEEEvPT_PKS4_jjjS4_T1_,comdat
.Lfunc_end64:
	.size	_ZN2at6native28tensor_kernel_scan_outer_dimIdjSt4plusIdEEEvPT_PKS4_jjjS4_T1_, .Lfunc_end64-_ZN2at6native28tensor_kernel_scan_outer_dimIdjSt4plusIdEEEvPT_PKS4_jjjS4_T1_
                                        ; -- End function
	.section	.AMDGPU.csdata,"",@progbits
; Kernel info:
; codeLenInByte = 328
; NumSgprs: 37
; NumVgprs: 12
; NumAgprs: 0
; TotalNumVgprs: 12
; ScratchSize: 0
; MemoryBound: 0
; FloatMode: 240
; IeeeMode: 1
; LDSByteSize: 0 bytes/workgroup (compile time only)
; SGPRBlocks: 4
; VGPRBlocks: 1
; NumSGPRsForWavesPerEU: 37
; NumVGPRsForWavesPerEU: 12
; AccumOffset: 12
; Occupancy: 8
; WaveLimiterHint : 0
; COMPUTE_PGM_RSRC2:SCRATCH_EN: 0
; COMPUTE_PGM_RSRC2:USER_SGPR: 2
; COMPUTE_PGM_RSRC2:TRAP_HANDLER: 0
; COMPUTE_PGM_RSRC2:TGID_X_EN: 1
; COMPUTE_PGM_RSRC2:TGID_Y_EN: 1
; COMPUTE_PGM_RSRC2:TGID_Z_EN: 0
; COMPUTE_PGM_RSRC2:TIDIG_COMP_CNT: 0
; COMPUTE_PGM_RSRC3_GFX90A:ACCUM_OFFSET: 2
; COMPUTE_PGM_RSRC3_GFX90A:TG_SPLIT: 0
	.section	.text._ZN2at6native28tensor_kernel_scan_outer_dimIdmSt4plusIdEEEvPT_PKS4_jjjS4_T1_,"axG",@progbits,_ZN2at6native28tensor_kernel_scan_outer_dimIdmSt4plusIdEEEvPT_PKS4_jjjS4_T1_,comdat
	.protected	_ZN2at6native28tensor_kernel_scan_outer_dimIdmSt4plusIdEEEvPT_PKS4_jjjS4_T1_ ; -- Begin function _ZN2at6native28tensor_kernel_scan_outer_dimIdmSt4plusIdEEEvPT_PKS4_jjjS4_T1_
	.globl	_ZN2at6native28tensor_kernel_scan_outer_dimIdmSt4plusIdEEEvPT_PKS4_jjjS4_T1_
	.p2align	8
	.type	_ZN2at6native28tensor_kernel_scan_outer_dimIdmSt4plusIdEEEvPT_PKS4_jjjS4_T1_,@function
_ZN2at6native28tensor_kernel_scan_outer_dimIdmSt4plusIdEEEvPT_PKS4_jjjS4_T1_: ; @_ZN2at6native28tensor_kernel_scan_outer_dimIdmSt4plusIdEEEvPT_PKS4_jjjS4_T1_
; %bb.0:
	s_load_dwordx4 s[8:11], s[0:1], 0x10
	s_waitcnt lgkmcnt(0)
	s_cmp_ge_u32 s2, s8
	s_cbranch_scc1 .LBB65_9
; %bb.1:
	s_load_dword s11, s[0:1], 0x30
	s_load_dword s4, s[0:1], 0x3c
	s_load_dwordx4 s[12:15], s[0:1], 0x0
	s_load_dwordx2 s[6:7], s[0:1], 0x20
	s_add_u32 s16, s0, 48
	s_addc_u32 s17, s1, 0
	s_waitcnt lgkmcnt(0)
	s_and_b32 s28, s4, 0xffff
	s_cmp_lg_u32 s10, 0
	s_mul_i32 s3, s3, s28
	s_cselect_b64 s[22:23], -1, 0
	v_add_u32_e32 v6, s3, v0
	s_mov_b32 s5, 0
	s_mov_b32 s4, s9
	s_mul_hi_u32 s19, s10, s9
	s_mul_i32 s18, s10, s9
	v_cndmask_b32_e64 v0, 0, 1, s[22:23]
	v_cmp_gt_u32_e64 s[0:1], s9, v6
	s_lshl_b64 s[18:19], s[18:19], 3
	s_lshl_b64 s[20:21], s[4:5], 3
	v_cmp_ne_u32_e64 s[4:5], 1, v0
	v_mov_b32_e32 v1, 0
	s_branch .LBB65_3
.LBB65_2:                               ;   in Loop: Header=BB65_3 Depth=1
	s_or_b64 exec, exec, s[22:23]
	s_add_i32 s2, s2, s11
	s_cmp_ge_u32 s2, s8
	s_cbranch_scc1 .LBB65_9
.LBB65_3:                               ; =>This Loop Header: Depth=1
                                        ;     Child Loop BB65_6 Depth 2
                                        ;       Child Loop BB65_8 Depth 3
	s_and_saveexec_b64 s[22:23], s[0:1]
	s_cbranch_execz .LBB65_2
; %bb.4:                                ;   in Loop: Header=BB65_3 Depth=1
	s_load_dword s3, s[16:17], 0x4
	s_mul_i32 s25, s19, s2
	s_mul_hi_u32 s26, s18, s2
	s_mul_i32 s24, s18, s2
	s_add_i32 s25, s26, s25
	s_waitcnt lgkmcnt(0)
	s_mul_i32 s3, s3, s28
	s_mov_b64 s[26:27], 0
	v_mov_b32_e32 v0, v6
	s_branch .LBB65_6
.LBB65_5:                               ;   in Loop: Header=BB65_6 Depth=2
	v_add_u32_e32 v0, s3, v0
	v_cmp_le_u32_e32 vcc, s9, v0
	s_or_b64 s[26:27], vcc, s[26:27]
	s_andn2_b64 exec, exec, s[26:27]
	s_cbranch_execz .LBB65_2
.LBB65_6:                               ;   Parent Loop BB65_3 Depth=1
                                        ; =>  This Loop Header: Depth=2
                                        ;       Child Loop BB65_8 Depth 3
	s_and_b64 vcc, exec, s[4:5]
	s_cbranch_vccnz .LBB65_5
; %bb.7:                                ;   in Loop: Header=BB65_6 Depth=2
	v_lshl_add_u64 v[2:3], v[0:1], 3, s[24:25]
	v_mov_b64_e32 v[4:5], s[6:7]
	s_mov_b32 s29, s10
.LBB65_8:                               ;   Parent Loop BB65_3 Depth=1
                                        ;     Parent Loop BB65_6 Depth=2
                                        ; =>    This Inner Loop Header: Depth=3
	v_lshl_add_u64 v[8:9], s[14:15], 0, v[2:3]
	global_load_dwordx2 v[8:9], v[8:9], off
	s_add_i32 s29, s29, -1
	v_lshl_add_u64 v[10:11], s[12:13], 0, v[2:3]
	v_lshl_add_u64 v[2:3], v[2:3], 0, s[20:21]
	s_cmp_eq_u32 s29, 0
	s_waitcnt vmcnt(0)
	v_add_f64 v[4:5], v[4:5], v[8:9]
	global_store_dwordx2 v[10:11], v[4:5], off
	s_cbranch_scc0 .LBB65_8
	s_branch .LBB65_5
.LBB65_9:
	s_endpgm
	.section	.rodata,"a",@progbits
	.p2align	6, 0x0
	.amdhsa_kernel _ZN2at6native28tensor_kernel_scan_outer_dimIdmSt4plusIdEEEvPT_PKS4_jjjS4_T1_
		.amdhsa_group_segment_fixed_size 0
		.amdhsa_private_segment_fixed_size 0
		.amdhsa_kernarg_size 304
		.amdhsa_user_sgpr_count 2
		.amdhsa_user_sgpr_dispatch_ptr 0
		.amdhsa_user_sgpr_queue_ptr 0
		.amdhsa_user_sgpr_kernarg_segment_ptr 1
		.amdhsa_user_sgpr_dispatch_id 0
		.amdhsa_user_sgpr_kernarg_preload_length 0
		.amdhsa_user_sgpr_kernarg_preload_offset 0
		.amdhsa_user_sgpr_private_segment_size 0
		.amdhsa_uses_dynamic_stack 0
		.amdhsa_enable_private_segment 0
		.amdhsa_system_sgpr_workgroup_id_x 1
		.amdhsa_system_sgpr_workgroup_id_y 1
		.amdhsa_system_sgpr_workgroup_id_z 0
		.amdhsa_system_sgpr_workgroup_info 0
		.amdhsa_system_vgpr_workitem_id 0
		.amdhsa_next_free_vgpr 12
		.amdhsa_next_free_sgpr 30
		.amdhsa_accum_offset 12
		.amdhsa_reserve_vcc 1
		.amdhsa_float_round_mode_32 0
		.amdhsa_float_round_mode_16_64 0
		.amdhsa_float_denorm_mode_32 3
		.amdhsa_float_denorm_mode_16_64 3
		.amdhsa_dx10_clamp 1
		.amdhsa_ieee_mode 1
		.amdhsa_fp16_overflow 0
		.amdhsa_tg_split 0
		.amdhsa_exception_fp_ieee_invalid_op 0
		.amdhsa_exception_fp_denorm_src 0
		.amdhsa_exception_fp_ieee_div_zero 0
		.amdhsa_exception_fp_ieee_overflow 0
		.amdhsa_exception_fp_ieee_underflow 0
		.amdhsa_exception_fp_ieee_inexact 0
		.amdhsa_exception_int_div_zero 0
	.end_amdhsa_kernel
	.section	.text._ZN2at6native28tensor_kernel_scan_outer_dimIdmSt4plusIdEEEvPT_PKS4_jjjS4_T1_,"axG",@progbits,_ZN2at6native28tensor_kernel_scan_outer_dimIdmSt4plusIdEEEvPT_PKS4_jjjS4_T1_,comdat
.Lfunc_end65:
	.size	_ZN2at6native28tensor_kernel_scan_outer_dimIdmSt4plusIdEEEvPT_PKS4_jjjS4_T1_, .Lfunc_end65-_ZN2at6native28tensor_kernel_scan_outer_dimIdmSt4plusIdEEEvPT_PKS4_jjjS4_T1_
                                        ; -- End function
	.section	.AMDGPU.csdata,"",@progbits
; Kernel info:
; codeLenInByte = 328
; NumSgprs: 36
; NumVgprs: 12
; NumAgprs: 0
; TotalNumVgprs: 12
; ScratchSize: 0
; MemoryBound: 0
; FloatMode: 240
; IeeeMode: 1
; LDSByteSize: 0 bytes/workgroup (compile time only)
; SGPRBlocks: 4
; VGPRBlocks: 1
; NumSGPRsForWavesPerEU: 36
; NumVGPRsForWavesPerEU: 12
; AccumOffset: 12
; Occupancy: 8
; WaveLimiterHint : 0
; COMPUTE_PGM_RSRC2:SCRATCH_EN: 0
; COMPUTE_PGM_RSRC2:USER_SGPR: 2
; COMPUTE_PGM_RSRC2:TRAP_HANDLER: 0
; COMPUTE_PGM_RSRC2:TGID_X_EN: 1
; COMPUTE_PGM_RSRC2:TGID_Y_EN: 1
; COMPUTE_PGM_RSRC2:TGID_Z_EN: 0
; COMPUTE_PGM_RSRC2:TIDIG_COMP_CNT: 0
; COMPUTE_PGM_RSRC3_GFX90A:ACCUM_OFFSET: 2
; COMPUTE_PGM_RSRC3_GFX90A:TG_SPLIT: 0
	.section	.text._ZN2at4cuda3cub15calc_block_sumsILi512ELi16ELb0EffEEvPKT2_PT3_li,"axG",@progbits,_ZN2at4cuda3cub15calc_block_sumsILi512ELi16ELb0EffEEvPKT2_PT3_li,comdat
	.protected	_ZN2at4cuda3cub15calc_block_sumsILi512ELi16ELb0EffEEvPKT2_PT3_li ; -- Begin function _ZN2at4cuda3cub15calc_block_sumsILi512ELi16ELb0EffEEvPKT2_PT3_li
	.globl	_ZN2at4cuda3cub15calc_block_sumsILi512ELi16ELb0EffEEvPKT2_PT3_li
	.p2align	8
	.type	_ZN2at4cuda3cub15calc_block_sumsILi512ELi16ELb0EffEEvPKT2_PT3_li,@function
_ZN2at4cuda3cub15calc_block_sumsILi512ELi16ELb0EffEEvPKT2_PT3_li: ; @_ZN2at4cuda3cub15calc_block_sumsILi512ELi16ELb0EffEEvPKT2_PT3_li
; %bb.0:
	s_load_dword s28, s[0:1], 0x18
	s_load_dwordx2 s[4:5], s[0:1], 0x10
	s_waitcnt lgkmcnt(0)
	s_lshl_b32 s3, s28, 13
	s_ashr_i32 s6, s3, 31
	s_mul_hi_u32 s7, s3, s2
	s_mul_i32 s6, s6, s2
	s_add_i32 s7, s7, s6
	s_mul_i32 s6, s3, s2
	s_sub_u32 s24, s4, s6
	s_subb_u32 s25, s5, s7
	v_cmp_lt_i64_e64 s[8:9], s[24:25], 1
	s_and_b64 vcc, exec, s[8:9]
	s_cbranch_vccnz .LBB66_54
; %bb.1:
	s_load_dwordx4 s[20:23], s[0:1], 0x0
	s_cmp_gt_i32 s28, 0
	s_mov_b32 s3, 0
	s_cbranch_scc1 .LBB66_3
; %bb.2:
	s_mov_b64 s[26:27], 0
	v_mov_b32_e32 v35, s3
	s_cbranch_execz .LBB66_4
	s_branch .LBB66_52
.LBB66_3:
	s_mov_b64 s[26:27], -1
	v_mov_b32_e32 v35, s3
.LBB66_4:
	s_mul_i32 s5, s2, s28
	s_lshl_b32 s5, s5, 13
	s_sub_i32 s29, s4, s5
	s_lshl_b64 s[4:5], s[6:7], 2
	v_lshrrev_b32_e32 v2, 4, v0
	s_waitcnt lgkmcnt(0)
	s_add_u32 s4, s20, s4
	v_and_b32_e32 v39, 60, v2
	v_lshlrev_b32_e32 v2, 2, v0
	v_mov_b32_e32 v3, 0
	s_addc_u32 s5, s21, s5
	v_lshl_add_u64 v[22:23], s[4:5], 0, v[2:3]
	v_mbcnt_lo_u32_b32 v2, -1, 0
	v_mbcnt_hi_u32_b32 v40, -1, v2
	v_bfrev_b32_e32 v2, 0.5
	v_add_u32_e32 v1, 0x200, v0
	v_or_b32_e32 v24, 0x400, v0
	v_add_u32_e32 v25, 0x600, v0
	v_or_b32_e32 v26, 0x800, v0
	;; [unrolled: 2-line block ×7, first 2 shown]
	v_add_u32_e32 v38, 0x1e00, v0
	v_cmp_gt_u32_e64 s[0:1], 64, v0
	s_mov_b32 s4, 0
	s_mov_b64 s[26:27], -1
	v_mov_b64_e32 v[20:21], 0x2000
	s_mov_b64 s[20:21], 0x8000
	v_lshl_or_b32 v41, v40, 2, v2
	v_mov_b32_e32 v35, 0
	s_mov_b32 s30, 0
	s_branch .LBB66_6
.LBB66_5:                               ;   in Loop: Header=BB66_6 Depth=1
	s_add_u32 s24, s24, 0xffffe000
	s_addc_u32 s25, s25, -1
	s_add_i32 s30, s30, 1
	s_cmp_lt_i32 s30, s28
	s_cselect_b64 s[26:27], -1, 0
	s_addk_i32 s29, 0xe000
	s_cmp_eq_u32 s28, s30
	v_lshl_add_u64 v[22:23], v[22:23], 0, s[20:21]
	s_cselect_b64 s[6:7], -1, 0
	s_barrier
	s_andn2_b64 vcc, exec, s[6:7]
	s_cbranch_vccz .LBB66_52
.LBB66_6:                               ; =>This Inner Loop Header: Depth=1
	v_cmp_lt_i64_e32 vcc, s[24:25], v[20:21]
	s_mov_b64 s[6:7], -1
                                        ; implicit-def: $vgpr2
	s_cbranch_vccz .LBB66_29
; %bb.7:                                ;   in Loop: Header=BB66_6 Depth=1
	s_mov_b32 s5, s4
	s_mov_b32 s6, s4
	;; [unrolled: 1-line block ×15, first 2 shown]
	v_mov_b64_e32 v[4:5], s[4:5]
	v_cmp_gt_u32_e32 vcc, s29, v0
	v_mov_b64_e32 v[6:7], s[6:7]
	v_mov_b64_e32 v[8:9], s[8:9]
	;; [unrolled: 1-line block ×7, first 2 shown]
	s_and_saveexec_b64 s[6:7], vcc
	s_cbranch_execnz .LBB66_37
; %bb.8:                                ;   in Loop: Header=BB66_6 Depth=1
	s_or_b64 exec, exec, s[6:7]
	v_cmp_gt_u32_e32 vcc, s29, v1
	s_and_saveexec_b64 s[6:7], vcc
	s_cbranch_execnz .LBB66_38
.LBB66_9:                               ;   in Loop: Header=BB66_6 Depth=1
	s_or_b64 exec, exec, s[6:7]
	v_cmp_gt_u32_e32 vcc, s29, v24
	s_and_saveexec_b64 s[6:7], vcc
	s_cbranch_execnz .LBB66_39
.LBB66_10:                              ;   in Loop: Header=BB66_6 Depth=1
	s_or_b64 exec, exec, s[6:7]
	v_cmp_gt_u32_e32 vcc, s29, v25
	s_and_saveexec_b64 s[6:7], vcc
	s_cbranch_execnz .LBB66_40
.LBB66_11:                              ;   in Loop: Header=BB66_6 Depth=1
	s_or_b64 exec, exec, s[6:7]
	v_cmp_gt_u32_e32 vcc, s29, v26
	s_and_saveexec_b64 s[6:7], vcc
	s_cbranch_execnz .LBB66_41
.LBB66_12:                              ;   in Loop: Header=BB66_6 Depth=1
	s_or_b64 exec, exec, s[6:7]
	v_cmp_gt_u32_e32 vcc, s29, v27
	s_and_saveexec_b64 s[6:7], vcc
	s_cbranch_execnz .LBB66_42
.LBB66_13:                              ;   in Loop: Header=BB66_6 Depth=1
	s_or_b64 exec, exec, s[6:7]
	v_cmp_gt_u32_e32 vcc, s29, v28
	s_and_saveexec_b64 s[6:7], vcc
	s_cbranch_execnz .LBB66_43
.LBB66_14:                              ;   in Loop: Header=BB66_6 Depth=1
	s_or_b64 exec, exec, s[6:7]
	v_cmp_gt_u32_e32 vcc, s29, v29
	s_and_saveexec_b64 s[6:7], vcc
	s_cbranch_execnz .LBB66_44
.LBB66_15:                              ;   in Loop: Header=BB66_6 Depth=1
	s_or_b64 exec, exec, s[6:7]
	v_cmp_gt_u32_e32 vcc, s29, v30
	s_and_saveexec_b64 s[6:7], vcc
	s_cbranch_execnz .LBB66_45
.LBB66_16:                              ;   in Loop: Header=BB66_6 Depth=1
	s_or_b64 exec, exec, s[6:7]
	v_cmp_gt_u32_e32 vcc, s29, v31
	s_and_saveexec_b64 s[6:7], vcc
	s_cbranch_execnz .LBB66_46
.LBB66_17:                              ;   in Loop: Header=BB66_6 Depth=1
	s_or_b64 exec, exec, s[6:7]
	v_cmp_gt_u32_e32 vcc, s29, v32
	s_and_saveexec_b64 s[6:7], vcc
	s_cbranch_execnz .LBB66_47
.LBB66_18:                              ;   in Loop: Header=BB66_6 Depth=1
	s_or_b64 exec, exec, s[6:7]
	v_cmp_gt_u32_e32 vcc, s29, v33
	s_and_saveexec_b64 s[6:7], vcc
	s_cbranch_execnz .LBB66_48
.LBB66_19:                              ;   in Loop: Header=BB66_6 Depth=1
	s_or_b64 exec, exec, s[6:7]
	v_cmp_gt_u32_e32 vcc, s29, v34
	s_and_saveexec_b64 s[6:7], vcc
	s_cbranch_execnz .LBB66_49
.LBB66_20:                              ;   in Loop: Header=BB66_6 Depth=1
	s_or_b64 exec, exec, s[6:7]
	v_cmp_gt_u32_e32 vcc, s29, v36
	s_and_saveexec_b64 s[6:7], vcc
	s_cbranch_execnz .LBB66_50
.LBB66_21:                              ;   in Loop: Header=BB66_6 Depth=1
	s_or_b64 exec, exec, s[6:7]
	v_cmp_gt_u32_e32 vcc, s29, v37
	s_and_saveexec_b64 s[6:7], vcc
	s_cbranch_execnz .LBB66_51
.LBB66_22:                              ;   in Loop: Header=BB66_6 Depth=1
	s_or_b64 exec, exec, s[6:7]
	v_cmp_gt_u32_e32 vcc, s29, v38
	s_and_saveexec_b64 s[6:7], vcc
	s_cbranch_execz .LBB66_24
.LBB66_23:                              ;   in Loop: Header=BB66_6 Depth=1
	v_add_co_u32_e32 v42, vcc, 0x7000, v22
	s_nop 1
	v_addc_co_u32_e32 v43, vcc, 0, v23, vcc
	global_load_dword v19, v[42:43], off offset:2048
.LBB66_24:                              ;   in Loop: Header=BB66_6 Depth=1
	s_or_b64 exec, exec, s[6:7]
	s_waitcnt vmcnt(0)
	v_add_f32_e32 v2, v4, v5
	v_add_f32_e32 v2, v6, v2
	;; [unrolled: 1-line block ×15, first 2 shown]
	v_cmp_eq_u32_e32 vcc, 0, v40
	s_nop 0
	v_mov_b32_dpp v4, v2 quad_perm:[1,0,3,2] row_mask:0xf bank_mask:0xf
	v_add_f32_e32 v2, v2, v4
	s_barrier
	s_nop 0
	v_mov_b32_dpp v4, v2 quad_perm:[2,3,0,1] row_mask:0xf bank_mask:0xf
	v_add_f32_e32 v2, v2, v4
	s_nop 1
	v_mov_b32_dpp v4, v2 row_ror:4 row_mask:0xf bank_mask:0xf
	v_add_f32_e32 v2, v2, v4
	s_nop 1
	v_mov_b32_dpp v4, v2 row_ror:8 row_mask:0xf bank_mask:0xf
	v_add_f32_e32 v2, v2, v4
	s_nop 1
	v_mov_b32_dpp v4, v2 row_bcast:15 row_mask:0xf bank_mask:0xf
	v_add_f32_e32 v2, v2, v4
	s_nop 1
	v_mov_b32_dpp v4, v2 row_bcast:31 row_mask:0xf bank_mask:0xf
	v_add_f32_e32 v2, v2, v4
	ds_bpermute_b32 v2, v41, v2
	s_and_saveexec_b64 s[6:7], vcc
	s_cbranch_execz .LBB66_26
; %bb.25:                               ;   in Loop: Header=BB66_6 Depth=1
	s_waitcnt lgkmcnt(0)
	ds_write_b32 v39, v2
.LBB66_26:                              ;   in Loop: Header=BB66_6 Depth=1
	s_or_b64 exec, exec, s[6:7]
	s_waitcnt lgkmcnt(0)
	s_barrier
	s_and_saveexec_b64 s[6:7], s[0:1]
	s_cbranch_execz .LBB66_28
; %bb.27:                               ;   in Loop: Header=BB66_6 Depth=1
	v_and_b32_e32 v2, 7, v40
	v_lshlrev_b32_e32 v4, 2, v2
	ds_read_b32 v4, v4
	v_cmp_ne_u32_e32 vcc, 7, v2
	s_nop 1
	v_addc_co_u32_e32 v5, vcc, 0, v40, vcc
	v_lshlrev_b32_e32 v5, 2, v5
	s_waitcnt lgkmcnt(0)
	ds_bpermute_b32 v5, v5, v4
	v_cmp_gt_u32_e32 vcc, 6, v2
	s_waitcnt lgkmcnt(0)
	v_add_f32_e32 v4, v4, v5
	v_cndmask_b32_e64 v6, 0, 1, vcc
	v_lshlrev_b32_e32 v6, 1, v6
	v_add_lshl_u32 v6, v6, v40, 2
	ds_bpermute_b32 v5, v6, v4
	v_cmp_gt_u32_e32 vcc, 4, v2
	s_waitcnt lgkmcnt(0)
	v_add_f32_e32 v4, v4, v5
	v_cndmask_b32_e64 v2, 0, 1, vcc
	v_lshlrev_b32_e32 v2, 2, v2
	v_add_lshl_u32 v2, v2, v40, 2
	ds_bpermute_b32 v2, v2, v4
	s_waitcnt lgkmcnt(0)
	v_add_f32_e32 v2, v4, v2
.LBB66_28:                              ;   in Loop: Header=BB66_6 Depth=1
	s_or_b64 exec, exec, s[6:7]
	s_mov_b64 s[6:7], 0
.LBB66_29:                              ;   in Loop: Header=BB66_6 Depth=1
	s_and_b64 vcc, exec, s[6:7]
	s_cbranch_vccz .LBB66_35
; %bb.30:                               ;   in Loop: Header=BB66_6 Depth=1
	global_load_dword v2, v[22:23], off
	global_load_dword v12, v[22:23], off offset:2048
	v_add_co_u32_e32 v4, vcc, 0x1000, v22
	s_waitcnt vmcnt(0)
	v_add_f32_e32 v2, v2, v12
	v_addc_co_u32_e32 v5, vcc, 0, v23, vcc
	v_add_co_u32_e32 v6, vcc, 0x2000, v22
	s_nop 1
	v_addc_co_u32_e32 v7, vcc, 0, v23, vcc
	v_add_co_u32_e32 v8, vcc, 0x3000, v22
	s_nop 1
	;; [unrolled: 3-line block ×3, first 2 shown]
	v_addc_co_u32_e32 v11, vcc, 0, v23, vcc
	global_load_dword v13, v[4:5], off
	global_load_dword v14, v[4:5], off offset:2048
	global_load_dword v15, v[6:7], off
	global_load_dword v16, v[6:7], off offset:2048
	;; [unrolled: 2-line block ×4, first 2 shown]
	v_add_co_u32_e32 v4, vcc, 0x5000, v22
	s_waitcnt vmcnt(7)
	v_add_f32_e32 v2, v2, v13
	v_addc_co_u32_e32 v5, vcc, 0, v23, vcc
	v_add_co_u32_e32 v6, vcc, 0x6000, v22
	s_waitcnt vmcnt(6)
	v_add_f32_e32 v2, v2, v14
	v_addc_co_u32_e32 v7, vcc, 0, v23, vcc
	;; [unrolled: 4-line block ×3, first 2 shown]
	global_load_dword v10, v[4:5], off
	global_load_dword v11, v[4:5], off offset:2048
	global_load_dword v43, v[6:7], off
	global_load_dword v44, v[6:7], off offset:2048
	;; [unrolled: 2-line block ×3, first 2 shown]
	s_waitcnt vmcnt(10)
	v_add_f32_e32 v2, v2, v16
	s_waitcnt vmcnt(9)
	v_add_f32_e32 v2, v2, v17
	;; [unrolled: 2-line block ×5, first 2 shown]
	v_cmp_eq_u32_e32 vcc, 0, v40
	s_barrier
	s_waitcnt vmcnt(5)
	v_add_f32_e32 v2, v2, v10
	s_waitcnt vmcnt(4)
	v_add_f32_e32 v2, v2, v11
	;; [unrolled: 2-line block ×6, first 2 shown]
	s_nop 1
	v_mov_b32_dpp v4, v2 quad_perm:[1,0,3,2] row_mask:0xf bank_mask:0xf
	v_add_f32_e32 v2, v2, v4
	s_nop 1
	v_mov_b32_dpp v4, v2 quad_perm:[2,3,0,1] row_mask:0xf bank_mask:0xf
	v_add_f32_e32 v2, v2, v4
	s_nop 1
	v_mov_b32_dpp v4, v2 row_ror:4 row_mask:0xf bank_mask:0xf
	v_add_f32_e32 v2, v2, v4
	s_nop 1
	v_mov_b32_dpp v4, v2 row_ror:8 row_mask:0xf bank_mask:0xf
	v_add_f32_e32 v2, v2, v4
	s_nop 1
	v_mov_b32_dpp v4, v2 row_bcast:15 row_mask:0xf bank_mask:0xf
	v_add_f32_e32 v2, v2, v4
	s_nop 1
	v_mov_b32_dpp v4, v2 row_bcast:31 row_mask:0xf bank_mask:0xf
	v_add_f32_e32 v2, v2, v4
	ds_bpermute_b32 v2, v41, v2
	s_and_saveexec_b64 s[6:7], vcc
	s_cbranch_execz .LBB66_32
; %bb.31:                               ;   in Loop: Header=BB66_6 Depth=1
	s_waitcnt lgkmcnt(0)
	ds_write_b32 v39, v2
.LBB66_32:                              ;   in Loop: Header=BB66_6 Depth=1
	s_or_b64 exec, exec, s[6:7]
	s_waitcnt lgkmcnt(0)
	s_barrier
	s_and_saveexec_b64 s[6:7], s[0:1]
	s_cbranch_execz .LBB66_34
; %bb.33:                               ;   in Loop: Header=BB66_6 Depth=1
	v_and_b32_e32 v2, 7, v40
	v_lshlrev_b32_e32 v4, 2, v2
	ds_read_b32 v4, v4
	v_cmp_ne_u32_e32 vcc, 7, v2
	s_nop 1
	v_addc_co_u32_e32 v5, vcc, 0, v40, vcc
	v_lshlrev_b32_e32 v5, 2, v5
	s_waitcnt lgkmcnt(0)
	ds_bpermute_b32 v5, v5, v4
	v_cmp_gt_u32_e32 vcc, 6, v2
	s_waitcnt lgkmcnt(0)
	v_add_f32_e32 v4, v4, v5
	v_cndmask_b32_e64 v6, 0, 1, vcc
	v_lshlrev_b32_e32 v6, 1, v6
	v_add_lshl_u32 v6, v6, v40, 2
	ds_bpermute_b32 v5, v6, v4
	v_cmp_gt_u32_e32 vcc, 4, v2
	s_waitcnt lgkmcnt(0)
	v_add_f32_e32 v4, v4, v5
	v_cndmask_b32_e64 v2, 0, 1, vcc
	v_lshlrev_b32_e32 v2, 2, v2
	v_add_lshl_u32 v2, v2, v40, 2
	ds_bpermute_b32 v2, v2, v4
	s_waitcnt lgkmcnt(0)
	v_add_f32_e32 v2, v4, v2
.LBB66_34:                              ;   in Loop: Header=BB66_6 Depth=1
	s_or_b64 exec, exec, s[6:7]
.LBB66_35:                              ;   in Loop: Header=BB66_6 Depth=1
	v_mov_b64_e32 v[4:5], 0x2001
	v_cmp_lt_i64_e32 vcc, s[24:25], v[4:5]
	v_add_f32_e32 v35, v35, v2
	s_cbranch_vccz .LBB66_5
; %bb.36:
                                        ; implicit-def: $sgpr30
                                        ; implicit-def: $sgpr24_sgpr25
                                        ; implicit-def: $sgpr29
                                        ; implicit-def: $vgpr22_vgpr23
	s_branch .LBB66_52
.LBB66_37:                              ;   in Loop: Header=BB66_6 Depth=1
	global_load_dword v2, v[22:23], off
	v_mov_b32_e32 v4, v3
	v_mov_b32_e32 v5, v3
	v_mov_b32_e32 v6, v3
	v_mov_b32_e32 v7, v3
	v_mov_b32_e32 v8, v3
	v_mov_b32_e32 v9, v3
	v_mov_b32_e32 v10, v3
	v_mov_b32_e32 v11, v3
	v_mov_b32_e32 v12, v3
	v_mov_b32_e32 v13, v3
	v_mov_b32_e32 v14, v3
	v_mov_b32_e32 v15, v3
	v_mov_b32_e32 v16, v3
	v_mov_b32_e32 v17, v3
	s_waitcnt vmcnt(0)
	v_mov_b64_e32 v[18:19], v[16:17]
	v_mov_b64_e32 v[16:17], v[14:15]
	;; [unrolled: 1-line block ×8, first 2 shown]
	s_or_b64 exec, exec, s[6:7]
	v_cmp_gt_u32_e32 vcc, s29, v1
	s_and_saveexec_b64 s[6:7], vcc
	s_cbranch_execz .LBB66_9
.LBB66_38:                              ;   in Loop: Header=BB66_6 Depth=1
	global_load_dword v5, v[22:23], off offset:2048
	s_or_b64 exec, exec, s[6:7]
	v_cmp_gt_u32_e32 vcc, s29, v24
	s_and_saveexec_b64 s[6:7], vcc
	s_cbranch_execz .LBB66_10
.LBB66_39:                              ;   in Loop: Header=BB66_6 Depth=1
	v_add_co_u32_e32 v42, vcc, 0x1000, v22
	s_nop 1
	v_addc_co_u32_e32 v43, vcc, 0, v23, vcc
	global_load_dword v6, v[42:43], off
	s_or_b64 exec, exec, s[6:7]
	v_cmp_gt_u32_e32 vcc, s29, v25
	s_and_saveexec_b64 s[6:7], vcc
	s_cbranch_execz .LBB66_11
.LBB66_40:                              ;   in Loop: Header=BB66_6 Depth=1
	v_add_co_u32_e32 v42, vcc, 0x1000, v22
	s_nop 1
	v_addc_co_u32_e32 v43, vcc, 0, v23, vcc
	global_load_dword v7, v[42:43], off offset:2048
	s_or_b64 exec, exec, s[6:7]
	v_cmp_gt_u32_e32 vcc, s29, v26
	s_and_saveexec_b64 s[6:7], vcc
	s_cbranch_execz .LBB66_12
.LBB66_41:                              ;   in Loop: Header=BB66_6 Depth=1
	v_add_co_u32_e32 v42, vcc, 0x2000, v22
	s_nop 1
	v_addc_co_u32_e32 v43, vcc, 0, v23, vcc
	global_load_dword v8, v[42:43], off
	s_or_b64 exec, exec, s[6:7]
	v_cmp_gt_u32_e32 vcc, s29, v27
	s_and_saveexec_b64 s[6:7], vcc
	s_cbranch_execz .LBB66_13
.LBB66_42:                              ;   in Loop: Header=BB66_6 Depth=1
	v_add_co_u32_e32 v42, vcc, 0x2000, v22
	s_nop 1
	v_addc_co_u32_e32 v43, vcc, 0, v23, vcc
	global_load_dword v9, v[42:43], off offset:2048
	s_or_b64 exec, exec, s[6:7]
	v_cmp_gt_u32_e32 vcc, s29, v28
	s_and_saveexec_b64 s[6:7], vcc
	s_cbranch_execz .LBB66_14
.LBB66_43:                              ;   in Loop: Header=BB66_6 Depth=1
	v_add_co_u32_e32 v42, vcc, 0x3000, v22
	s_nop 1
	v_addc_co_u32_e32 v43, vcc, 0, v23, vcc
	global_load_dword v10, v[42:43], off
	s_or_b64 exec, exec, s[6:7]
	v_cmp_gt_u32_e32 vcc, s29, v29
	s_and_saveexec_b64 s[6:7], vcc
	s_cbranch_execz .LBB66_15
.LBB66_44:                              ;   in Loop: Header=BB66_6 Depth=1
	v_add_co_u32_e32 v42, vcc, 0x3000, v22
	s_nop 1
	v_addc_co_u32_e32 v43, vcc, 0, v23, vcc
	global_load_dword v11, v[42:43], off offset:2048
	s_or_b64 exec, exec, s[6:7]
	v_cmp_gt_u32_e32 vcc, s29, v30
	s_and_saveexec_b64 s[6:7], vcc
	s_cbranch_execz .LBB66_16
.LBB66_45:                              ;   in Loop: Header=BB66_6 Depth=1
	v_add_co_u32_e32 v42, vcc, 0x4000, v22
	s_nop 1
	v_addc_co_u32_e32 v43, vcc, 0, v23, vcc
	global_load_dword v12, v[42:43], off
	s_or_b64 exec, exec, s[6:7]
	v_cmp_gt_u32_e32 vcc, s29, v31
	s_and_saveexec_b64 s[6:7], vcc
	s_cbranch_execz .LBB66_17
.LBB66_46:                              ;   in Loop: Header=BB66_6 Depth=1
	v_add_co_u32_e32 v42, vcc, 0x4000, v22
	s_nop 1
	v_addc_co_u32_e32 v43, vcc, 0, v23, vcc
	global_load_dword v13, v[42:43], off offset:2048
	s_or_b64 exec, exec, s[6:7]
	v_cmp_gt_u32_e32 vcc, s29, v32
	s_and_saveexec_b64 s[6:7], vcc
	s_cbranch_execz .LBB66_18
.LBB66_47:                              ;   in Loop: Header=BB66_6 Depth=1
	v_add_co_u32_e32 v42, vcc, 0x5000, v22
	s_nop 1
	v_addc_co_u32_e32 v43, vcc, 0, v23, vcc
	global_load_dword v14, v[42:43], off
	s_or_b64 exec, exec, s[6:7]
	v_cmp_gt_u32_e32 vcc, s29, v33
	s_and_saveexec_b64 s[6:7], vcc
	s_cbranch_execz .LBB66_19
.LBB66_48:                              ;   in Loop: Header=BB66_6 Depth=1
	v_add_co_u32_e32 v42, vcc, 0x5000, v22
	s_nop 1
	v_addc_co_u32_e32 v43, vcc, 0, v23, vcc
	global_load_dword v15, v[42:43], off offset:2048
	s_or_b64 exec, exec, s[6:7]
	v_cmp_gt_u32_e32 vcc, s29, v34
	s_and_saveexec_b64 s[6:7], vcc
	s_cbranch_execz .LBB66_20
.LBB66_49:                              ;   in Loop: Header=BB66_6 Depth=1
	v_add_co_u32_e32 v42, vcc, 0x6000, v22
	s_nop 1
	v_addc_co_u32_e32 v43, vcc, 0, v23, vcc
	global_load_dword v16, v[42:43], off
	s_or_b64 exec, exec, s[6:7]
	v_cmp_gt_u32_e32 vcc, s29, v36
	s_and_saveexec_b64 s[6:7], vcc
	s_cbranch_execz .LBB66_21
.LBB66_50:                              ;   in Loop: Header=BB66_6 Depth=1
	v_add_co_u32_e32 v42, vcc, 0x6000, v22
	s_nop 1
	v_addc_co_u32_e32 v43, vcc, 0, v23, vcc
	global_load_dword v17, v[42:43], off offset:2048
	s_or_b64 exec, exec, s[6:7]
	v_cmp_gt_u32_e32 vcc, s29, v37
	s_and_saveexec_b64 s[6:7], vcc
	s_cbranch_execz .LBB66_22
.LBB66_51:                              ;   in Loop: Header=BB66_6 Depth=1
	v_add_co_u32_e32 v42, vcc, 0x7000, v22
	s_nop 1
	v_addc_co_u32_e32 v43, vcc, 0, v23, vcc
	global_load_dword v18, v[42:43], off
	s_or_b64 exec, exec, s[6:7]
	v_cmp_gt_u32_e32 vcc, s29, v38
	s_and_saveexec_b64 s[6:7], vcc
	s_cbranch_execnz .LBB66_23
	s_branch .LBB66_24
.LBB66_52:
	v_cmp_eq_u32_e32 vcc, 0, v0
	s_xor_b64 s[0:1], s[26:27], -1
	s_and_b64 s[0:1], vcc, s[0:1]
	s_and_saveexec_b64 s[4:5], s[0:1]
	s_cbranch_execz .LBB66_54
; %bb.53:
	s_lshl_b64 s[0:1], s[2:3], 2
	s_waitcnt lgkmcnt(0)
	s_add_u32 s0, s22, s0
	s_addc_u32 s1, s23, s1
	v_mov_b32_e32 v0, 0
	global_store_dword v0, v35, s[0:1]
.LBB66_54:
	s_endpgm
	.section	.rodata,"a",@progbits
	.p2align	6, 0x0
	.amdhsa_kernel _ZN2at4cuda3cub15calc_block_sumsILi512ELi16ELb0EffEEvPKT2_PT3_li
		.amdhsa_group_segment_fixed_size 32
		.amdhsa_private_segment_fixed_size 0
		.amdhsa_kernarg_size 28
		.amdhsa_user_sgpr_count 2
		.amdhsa_user_sgpr_dispatch_ptr 0
		.amdhsa_user_sgpr_queue_ptr 0
		.amdhsa_user_sgpr_kernarg_segment_ptr 1
		.amdhsa_user_sgpr_dispatch_id 0
		.amdhsa_user_sgpr_kernarg_preload_length 0
		.amdhsa_user_sgpr_kernarg_preload_offset 0
		.amdhsa_user_sgpr_private_segment_size 0
		.amdhsa_uses_dynamic_stack 0
		.amdhsa_enable_private_segment 0
		.amdhsa_system_sgpr_workgroup_id_x 1
		.amdhsa_system_sgpr_workgroup_id_y 0
		.amdhsa_system_sgpr_workgroup_id_z 0
		.amdhsa_system_sgpr_workgroup_info 0
		.amdhsa_system_vgpr_workitem_id 0
		.amdhsa_next_free_vgpr 47
		.amdhsa_next_free_sgpr 31
		.amdhsa_accum_offset 48
		.amdhsa_reserve_vcc 1
		.amdhsa_float_round_mode_32 0
		.amdhsa_float_round_mode_16_64 0
		.amdhsa_float_denorm_mode_32 3
		.amdhsa_float_denorm_mode_16_64 3
		.amdhsa_dx10_clamp 1
		.amdhsa_ieee_mode 1
		.amdhsa_fp16_overflow 0
		.amdhsa_tg_split 0
		.amdhsa_exception_fp_ieee_invalid_op 0
		.amdhsa_exception_fp_denorm_src 0
		.amdhsa_exception_fp_ieee_div_zero 0
		.amdhsa_exception_fp_ieee_overflow 0
		.amdhsa_exception_fp_ieee_underflow 0
		.amdhsa_exception_fp_ieee_inexact 0
		.amdhsa_exception_int_div_zero 0
	.end_amdhsa_kernel
	.section	.text._ZN2at4cuda3cub15calc_block_sumsILi512ELi16ELb0EffEEvPKT2_PT3_li,"axG",@progbits,_ZN2at4cuda3cub15calc_block_sumsILi512ELi16ELb0EffEEvPKT2_PT3_li,comdat
.Lfunc_end66:
	.size	_ZN2at4cuda3cub15calc_block_sumsILi512ELi16ELb0EffEEvPKT2_PT3_li, .Lfunc_end66-_ZN2at4cuda3cub15calc_block_sumsILi512ELi16ELb0EffEEvPKT2_PT3_li
                                        ; -- End function
	.section	.AMDGPU.csdata,"",@progbits
; Kernel info:
; codeLenInByte = 2532
; NumSgprs: 37
; NumVgprs: 47
; NumAgprs: 0
; TotalNumVgprs: 47
; ScratchSize: 0
; MemoryBound: 0
; FloatMode: 240
; IeeeMode: 1
; LDSByteSize: 32 bytes/workgroup (compile time only)
; SGPRBlocks: 4
; VGPRBlocks: 5
; NumSGPRsForWavesPerEU: 37
; NumVGPRsForWavesPerEU: 47
; AccumOffset: 48
; Occupancy: 8
; WaveLimiterHint : 1
; COMPUTE_PGM_RSRC2:SCRATCH_EN: 0
; COMPUTE_PGM_RSRC2:USER_SGPR: 2
; COMPUTE_PGM_RSRC2:TRAP_HANDLER: 0
; COMPUTE_PGM_RSRC2:TGID_X_EN: 1
; COMPUTE_PGM_RSRC2:TGID_Y_EN: 0
; COMPUTE_PGM_RSRC2:TGID_Z_EN: 0
; COMPUTE_PGM_RSRC2:TIDIG_COMP_CNT: 0
; COMPUTE_PGM_RSRC3_GFX90A:ACCUM_OFFSET: 11
; COMPUTE_PGM_RSRC3_GFX90A:TG_SPLIT: 0
	.section	.text._ZN2at4cuda3cub17final_scan_kernelILi512ELi16EfEEvPKT1_PS3_S6_li,"axG",@progbits,_ZN2at4cuda3cub17final_scan_kernelILi512ELi16EfEEvPKT1_PS3_S6_li,comdat
	.protected	_ZN2at4cuda3cub17final_scan_kernelILi512ELi16EfEEvPKT1_PS3_S6_li ; -- Begin function _ZN2at4cuda3cub17final_scan_kernelILi512ELi16EfEEvPKT1_PS3_S6_li
	.globl	_ZN2at4cuda3cub17final_scan_kernelILi512ELi16EfEEvPKT1_PS3_S6_li
	.p2align	8
	.type	_ZN2at4cuda3cub17final_scan_kernelILi512ELi16EfEEvPKT1_PS3_S6_li,@function
_ZN2at4cuda3cub17final_scan_kernelILi512ELi16EfEEvPKT1_PS3_S6_li: ; @_ZN2at4cuda3cub17final_scan_kernelILi512ELi16EfEEvPKT1_PS3_S6_li
; %bb.0:
	s_load_dword s33, s[0:1], 0x20
	s_load_dwordx8 s[40:47], s[0:1], 0x0
	s_waitcnt lgkmcnt(0)
	s_lshl_b32 s3, s33, 13
	s_ashr_i32 s4, s3, 31
	s_mul_hi_u32 s5, s3, s2
	s_mul_i32 s4, s4, s2
	s_add_i32 s31, s5, s4
	s_mul_i32 s30, s3, s2
	s_sub_u32 s34, s46, s30
	s_subb_u32 s35, s47, s31
	v_cmp_lt_i64_e64 s[4:5], s[34:35], 1
	s_and_b64 vcc, exec, s[4:5]
	s_cbranch_vccnz .LBB67_98
; %bb.1:
	v_cmp_gt_u32_e32 vcc, s2, v0
	v_mov_b32_e32 v4, 0
	v_lshlrev_b32_e32 v30, 2, v0
	s_and_saveexec_b64 s[4:5], vcc
	s_cbranch_execz .LBB67_3
; %bb.2:
	global_load_dword v4, v30, s[44:45]
.LBB67_3:
	s_or_b64 exec, exec, s[4:5]
	s_load_dword s0, s[0:1], 0x34
	s_waitcnt lgkmcnt(0)
	s_and_b32 s3, s0, 0xffff
	v_add_u32_e32 v2, s3, v0
	v_cmp_gt_u32_e32 vcc, s2, v2
	s_and_saveexec_b64 s[0:1], vcc
	s_cbranch_execz .LBB67_7
; %bb.4:
	s_mov_b64 s[4:5], 0
	v_mov_b32_e32 v3, 0
.LBB67_5:                               ; =>This Inner Loop Header: Depth=1
	v_lshl_add_u64 v[6:7], v[2:3], 2, s[44:45]
	global_load_dword v1, v[6:7], off
	v_add_u32_e32 v2, s3, v2
	v_cmp_le_u32_e32 vcc, s2, v2
	s_or_b64 s[4:5], vcc, s[4:5]
	s_waitcnt vmcnt(0)
	v_add_f32_e32 v4, v4, v1
	s_andn2_b64 exec, exec, s[4:5]
	s_cbranch_execnz .LBB67_5
; %bb.6:
	s_or_b64 exec, exec, s[4:5]
.LBB67_7:
	s_or_b64 exec, exec, s[0:1]
	s_waitcnt vmcnt(0)
	v_mov_b32_dpp v2, v4 quad_perm:[1,0,3,2] row_mask:0xf bank_mask:0xf
	v_add_f32_e32 v2, v4, v2
	v_mbcnt_lo_u32_b32 v1, -1, 0
	v_mbcnt_hi_u32_b32 v1, -1, v1
	v_mov_b32_dpp v3, v2 quad_perm:[2,3,0,1] row_mask:0xf bank_mask:0xf
	v_add_f32_e32 v2, v2, v3
	v_cmp_eq_u32_e64 s[0:1], 0, v1
	s_nop 0
	v_mov_b32_dpp v3, v2 row_ror:4 row_mask:0xf bank_mask:0xf
	v_add_f32_e32 v2, v2, v3
	s_nop 1
	v_mov_b32_dpp v3, v2 row_ror:8 row_mask:0xf bank_mask:0xf
	v_add_f32_e32 v2, v2, v3
	s_nop 1
	v_mov_b32_dpp v3, v2 row_bcast:15 row_mask:0xf bank_mask:0xf
	v_add_f32_e32 v2, v2, v3
	s_nop 1
	v_mov_b32_dpp v3, v2 row_bcast:31 row_mask:0xf bank_mask:0xf
	v_add_f32_e32 v2, v2, v3
	v_bfrev_b32_e32 v3, 0.5
	v_lshl_or_b32 v3, v1, 2, v3
	ds_bpermute_b32 v31, v3, v2
	s_and_saveexec_b64 s[2:3], s[0:1]
	s_cbranch_execz .LBB67_9
; %bb.8:
	v_lshrrev_b32_e32 v2, 4, v0
	v_and_b32_e32 v2, 60, v2
	s_waitcnt lgkmcnt(0)
	ds_write_b32 v2, v31
.LBB67_9:
	s_or_b64 exec, exec, s[2:3]
	v_cmp_lt_u32_e64 s[2:3], 63, v0
	v_cmp_gt_u32_e64 s[4:5], 64, v0
	v_and_b32_e32 v2, 7, v1
	s_waitcnt lgkmcnt(0)
	s_barrier
	s_and_saveexec_b64 s[6:7], s[4:5]
	s_cbranch_execz .LBB67_11
; %bb.10:
	v_lshlrev_b32_e32 v3, 2, v2
	ds_read_b32 v3, v3
	v_cmp_ne_u32_e32 vcc, 7, v2
	s_nop 1
	v_addc_co_u32_e32 v4, vcc, 0, v1, vcc
	v_lshlrev_b32_e32 v4, 2, v4
	s_waitcnt lgkmcnt(0)
	ds_bpermute_b32 v4, v4, v3
	v_cmp_gt_u32_e32 vcc, 6, v2
	s_waitcnt lgkmcnt(0)
	v_add_f32_e32 v3, v3, v4
	v_cndmask_b32_e64 v5, 0, 1, vcc
	v_lshlrev_b32_e32 v5, 1, v5
	v_add_lshl_u32 v5, v5, v1, 2
	ds_bpermute_b32 v4, v5, v3
	v_cmp_gt_u32_e32 vcc, 4, v2
	s_waitcnt lgkmcnt(0)
	v_add_f32_e32 v3, v3, v4
	v_cndmask_b32_e64 v5, 0, 1, vcc
	v_lshlrev_b32_e32 v5, 2, v5
	v_add_lshl_u32 v4, v5, v1, 2
	ds_bpermute_b32 v4, v4, v3
	s_waitcnt lgkmcnt(0)
	v_add_f32_e32 v31, v3, v4
.LBB67_11:
	s_or_b64 exec, exec, s[6:7]
	s_cmp_lt_i32 s33, 1
	s_barrier
	s_cbranch_scc1 .LBB67_98
; %bb.12:
	v_lshlrev_b32_e32 v3, 4, v0
	s_movk_i32 s6, 0x3c00
	v_and_or_b32 v32, v3, s6, v1
	v_add_u32_e32 v33, 64, v32
	v_lshrrev_b32_e32 v3, 5, v32
	v_or_b32_e32 v34, 0x80, v32
	v_add_lshl_u32 v48, v3, v32, 2
	v_lshrrev_b32_e32 v3, 5, v33
	v_add_u32_e32 v35, 0xc0, v32
	v_add_lshl_u32 v49, v3, v33, 2
	v_lshrrev_b32_e32 v3, 5, v34
	v_or_b32_e32 v36, 0x100, v32
	v_add_lshl_u32 v50, v3, v34, 2
	v_lshrrev_b32_e32 v3, 5, v35
	v_add_u32_e32 v37, 0x140, v32
	v_add_lshl_u32 v51, v3, v35, 2
	;; [unrolled: 6-line block ×7, first 2 shown]
	v_lshrrev_b32_e32 v3, 5, v46
	v_add_lshl_u32 v62, v3, v46, 2
	v_lshrrev_b32_e32 v3, 5, v47
	v_add_lshl_u32 v63, v3, v47, 2
	v_and_b32_e32 v3, 0x3c0, v0
	v_add_u32_e32 v4, v1, v3
	v_lshlrev_b32_e32 v5, 4, v4
	v_bfe_u32 v4, v4, 1, 27
	v_min_u32_e32 v3, 0x1c0, v3
	v_add_lshl_u32 v64, v4, v5, 2
	v_and_b32_e32 v4, 15, v1
	v_or_b32_e32 v3, 63, v3
	v_cmp_eq_u32_e64 s[6:7], 0, v4
	v_cmp_lt_u32_e64 s[8:9], 1, v4
	v_cmp_lt_u32_e64 s[10:11], 3, v4
	;; [unrolled: 1-line block ×3, first 2 shown]
	v_and_b32_e32 v4, 16, v1
	v_cmp_eq_u32_e64 s[18:19], v3, v0
	v_cmp_eq_u32_e64 s[22:23], 0, v2
	v_cmp_lt_u32_e64 s[24:25], 1, v2
	v_cmp_lt_u32_e64 s[26:27], 3, v2
	v_add_u32_e32 v2, -1, v1
	v_and_b32_e32 v3, 64, v1
	v_cmp_eq_u32_e64 s[14:15], 0, v4
	v_lshrrev_b32_e32 v4, 6, v0
	v_cmp_lt_i32_e32 vcc, v2, v3
	v_cmp_lt_u32_e64 s[16:17], 31, v1
	v_cmp_gt_u32_e64 s[20:21], 8, v0
	v_cndmask_b32_e32 v2, v2, v1, vcc
	v_cmp_eq_u32_e64 s[28:29], 0, v0
	v_lshlrev_b32_e32 v18, 2, v1
	v_mov_b32_e32 v1, 0
	v_lshlrev_b32_e32 v0, 12, v4
	v_lshlrev_b32_e32 v67, 2, v2
	v_lshl_add_u64 v[2:3], s[30:31], 2, v[0:1]
	v_lshlrev_b32_e32 v65, 2, v4
	v_lshl_add_u64 v[4:5], v[2:3], 0, s[42:43]
	s_mov_b64 s[30:31], 0xf00
	s_mov_b32 s36, 0
	v_add_u32_e32 v66, -4, v65
	v_mov_b32_e32 v19, v1
	v_lshl_add_u64 v[24:25], v[4:5], 0, s[30:31]
	v_lshl_add_u64 v[26:27], s[40:41], 0, v[2:3]
	v_mov_b64_e32 v[20:21], 0x2000
	v_mov_b64_e32 v[22:23], 0x1fff
	s_mov_b64 s[52:53], 0x8000
	s_branch .LBB67_14
.LBB67_13:                              ;   in Loop: Header=BB67_14 Depth=1
	s_add_u32 s34, s34, 0xffffe000
	s_addc_u32 s35, s35, -1
	s_add_i32 s33, s33, -1
	s_cmp_eq_u32 s33, 0
	v_lshl_add_u64 v[24:25], v[24:25], 0, s[52:53]
	v_lshl_add_u64 v[26:27], v[26:27], 0, s[52:53]
	s_cselect_b64 s[30:31], -1, 0
	s_waitcnt lgkmcnt(0)
	s_barrier
	s_andn2_b64 vcc, exec, s[30:31]
	s_cbranch_vccz .LBB67_98
.LBB67_14:                              ; =>This Inner Loop Header: Depth=1
	v_cmp_gt_i64_e32 vcc, s[34:35], v[22:23]
	s_mov_b64 s[38:39], -1
	v_cmp_gt_u32_e64 s[30:31], s34, v32
	s_cbranch_vccnz .LBB67_33
; %bb.15:                               ;   in Loop: Header=BB67_14 Depth=1
	s_mov_b32 s37, s36
	s_mov_b32 s38, s36
	;; [unrolled: 1-line block ×15, first 2 shown]
	v_mov_b64_e32 v[2:3], s[36:37]
	s_waitcnt lgkmcnt(0)
	v_lshl_add_u64 v[28:29], v[26:27], 0, v[18:19]
	v_mov_b64_e32 v[4:5], s[38:39]
	v_mov_b64_e32 v[6:7], s[40:41]
	;; [unrolled: 1-line block ×7, first 2 shown]
	s_and_saveexec_b64 s[38:39], s[30:31]
	s_cbranch_execnz .LBB67_83
; %bb.16:                               ;   in Loop: Header=BB67_14 Depth=1
	s_or_b64 exec, exec, s[38:39]
	v_cmp_gt_u32_e32 vcc, s34, v33
	s_and_saveexec_b64 s[30:31], vcc
	s_cbranch_execnz .LBB67_84
.LBB67_17:                              ;   in Loop: Header=BB67_14 Depth=1
	s_or_b64 exec, exec, s[30:31]
	v_cmp_gt_u32_e32 vcc, s34, v34
	s_and_saveexec_b64 s[30:31], vcc
	s_cbranch_execnz .LBB67_85
.LBB67_18:                              ;   in Loop: Header=BB67_14 Depth=1
	s_or_b64 exec, exec, s[30:31]
	v_cmp_gt_u32_e32 vcc, s34, v35
	s_and_saveexec_b64 s[30:31], vcc
	s_cbranch_execnz .LBB67_86
.LBB67_19:                              ;   in Loop: Header=BB67_14 Depth=1
	s_or_b64 exec, exec, s[30:31]
	v_cmp_gt_u32_e32 vcc, s34, v36
	s_and_saveexec_b64 s[30:31], vcc
	s_cbranch_execnz .LBB67_87
.LBB67_20:                              ;   in Loop: Header=BB67_14 Depth=1
	s_or_b64 exec, exec, s[30:31]
	v_cmp_gt_u32_e32 vcc, s34, v37
	s_and_saveexec_b64 s[30:31], vcc
	s_cbranch_execnz .LBB67_88
.LBB67_21:                              ;   in Loop: Header=BB67_14 Depth=1
	s_or_b64 exec, exec, s[30:31]
	v_cmp_gt_u32_e32 vcc, s34, v38
	s_and_saveexec_b64 s[30:31], vcc
	s_cbranch_execnz .LBB67_89
.LBB67_22:                              ;   in Loop: Header=BB67_14 Depth=1
	s_or_b64 exec, exec, s[30:31]
	v_cmp_gt_u32_e32 vcc, s34, v39
	s_and_saveexec_b64 s[30:31], vcc
	s_cbranch_execnz .LBB67_90
.LBB67_23:                              ;   in Loop: Header=BB67_14 Depth=1
	s_or_b64 exec, exec, s[30:31]
	v_cmp_gt_u32_e32 vcc, s34, v40
	s_and_saveexec_b64 s[30:31], vcc
	s_cbranch_execnz .LBB67_91
.LBB67_24:                              ;   in Loop: Header=BB67_14 Depth=1
	s_or_b64 exec, exec, s[30:31]
	v_cmp_gt_u32_e32 vcc, s34, v41
	s_and_saveexec_b64 s[30:31], vcc
	s_cbranch_execnz .LBB67_92
.LBB67_25:                              ;   in Loop: Header=BB67_14 Depth=1
	s_or_b64 exec, exec, s[30:31]
	v_cmp_gt_u32_e32 vcc, s34, v42
	s_and_saveexec_b64 s[30:31], vcc
	s_cbranch_execnz .LBB67_93
.LBB67_26:                              ;   in Loop: Header=BB67_14 Depth=1
	s_or_b64 exec, exec, s[30:31]
	v_cmp_gt_u32_e32 vcc, s34, v43
	s_and_saveexec_b64 s[30:31], vcc
	s_cbranch_execnz .LBB67_94
.LBB67_27:                              ;   in Loop: Header=BB67_14 Depth=1
	s_or_b64 exec, exec, s[30:31]
	v_cmp_gt_u32_e32 vcc, s34, v44
	s_and_saveexec_b64 s[30:31], vcc
	s_cbranch_execnz .LBB67_95
.LBB67_28:                              ;   in Loop: Header=BB67_14 Depth=1
	s_or_b64 exec, exec, s[30:31]
	v_cmp_gt_u32_e32 vcc, s34, v45
	s_and_saveexec_b64 s[30:31], vcc
	s_cbranch_execnz .LBB67_96
.LBB67_29:                              ;   in Loop: Header=BB67_14 Depth=1
	s_or_b64 exec, exec, s[30:31]
	v_cmp_gt_u32_e32 vcc, s34, v46
	s_and_saveexec_b64 s[30:31], vcc
	s_cbranch_execnz .LBB67_97
.LBB67_30:                              ;   in Loop: Header=BB67_14 Depth=1
	s_or_b64 exec, exec, s[30:31]
	v_cmp_gt_u32_e32 vcc, s34, v47
	s_and_saveexec_b64 s[30:31], vcc
	s_cbranch_execz .LBB67_32
.LBB67_31:                              ;   in Loop: Header=BB67_14 Depth=1
	global_load_dword v17, v[28:29], off offset:3840
.LBB67_32:                              ;   in Loop: Header=BB67_14 Depth=1
	s_or_b64 exec, exec, s[30:31]
	s_mov_b64 s[38:39], 0
	ds_write_b32 v48, v2
	s_waitcnt vmcnt(0)
	ds_write_b32 v49, v3
	ds_write_b32 v50, v4
	;; [unrolled: 1-line block ×15, first 2 shown]
	; wave barrier
.LBB67_33:                              ;   in Loop: Header=BB67_14 Depth=1
	s_and_b64 vcc, exec, s[38:39]
	s_cbranch_vccz .LBB67_35
; %bb.34:                               ;   in Loop: Header=BB67_14 Depth=1
	v_lshl_add_u64 v[2:3], v[26:27], 0, v[18:19]
	global_load_dword v0, v[2:3], off
	global_load_dword v4, v[2:3], off offset:256
	global_load_dword v5, v[2:3], off offset:512
	;; [unrolled: 1-line block ×14, first 2 shown]
	s_nop 0
	global_load_dword v2, v[2:3], off offset:3840
	s_waitcnt vmcnt(15)
	ds_write_b32 v48, v0
	s_waitcnt vmcnt(14)
	ds_write_b32 v49, v4
	s_waitcnt vmcnt(13)
	ds_write_b32 v50, v5
	s_waitcnt vmcnt(12)
	ds_write_b32 v51, v6
	s_waitcnt vmcnt(11)
	ds_write_b32 v52, v7
	s_waitcnt vmcnt(10)
	ds_write_b32 v53, v8
	s_waitcnt vmcnt(9)
	ds_write_b32 v54, v9
	s_waitcnt vmcnt(8)
	ds_write_b32 v55, v10
	s_waitcnt vmcnt(7)
	ds_write_b32 v56, v11
	s_waitcnt vmcnt(6)
	ds_write_b32 v57, v12
	s_waitcnt vmcnt(5)
	ds_write_b32 v58, v13
	s_waitcnt vmcnt(4)
	ds_write_b32 v59, v14
	s_waitcnt vmcnt(3)
	ds_write_b32 v60, v15
	s_waitcnt vmcnt(2)
	ds_write_b32 v61, v16
	s_waitcnt vmcnt(1)
	ds_write_b32 v62, v17
	s_waitcnt vmcnt(0)
	ds_write_b32 v63, v2
	; wave barrier
.LBB67_35:                              ;   in Loop: Header=BB67_14 Depth=1
	ds_read2_b32 v[16:17], v64 offset1:1
	ds_read2_b32 v[14:15], v64 offset0:2 offset1:3
	ds_read2_b32 v[12:13], v64 offset0:4 offset1:5
	;; [unrolled: 1-line block ×7, first 2 shown]
	s_waitcnt lgkmcnt(7)
	v_add_f32_e32 v0, v16, v17
	s_waitcnt lgkmcnt(6)
	v_add_f32_e32 v0, v14, v0
	v_add_f32_e32 v0, v15, v0
	s_waitcnt lgkmcnt(5)
	v_add_f32_e32 v0, v12, v0
	;; [unrolled: 3-line block ×7, first 2 shown]
	v_add_f32_e32 v0, v3, v0
	s_barrier
	s_nop 0
	v_mov_b32_dpp v28, v0 row_shr:1 row_mask:0xf bank_mask:0xf
	v_add_f32_e32 v28, v0, v28
	v_cndmask_b32_e64 v0, v28, v0, s[6:7]
	s_nop 1
	v_mov_b32_dpp v28, v0 row_shr:2 row_mask:0xf bank_mask:0xf
	v_add_f32_e32 v28, v0, v28
	v_cndmask_b32_e64 v0, v0, v28, s[8:9]
	s_nop 1
	v_mov_b32_dpp v28, v0 row_shr:4 row_mask:0xf bank_mask:0xf
	v_add_f32_e32 v28, v0, v28
	v_cndmask_b32_e64 v0, v0, v28, s[10:11]
	s_nop 1
	v_mov_b32_dpp v28, v0 row_shr:8 row_mask:0xf bank_mask:0xf
	v_add_f32_e32 v28, v0, v28
	v_cndmask_b32_e64 v0, v0, v28, s[12:13]
	s_nop 1
	v_mov_b32_dpp v28, v0 row_bcast:15 row_mask:0xf bank_mask:0xf
	v_add_f32_e32 v28, v0, v28
	v_cndmask_b32_e64 v0, v28, v0, s[14:15]
	s_nop 1
	v_mov_b32_dpp v28, v0 row_bcast:31 row_mask:0xf bank_mask:0xf
	v_add_f32_e32 v28, v0, v28
	v_cndmask_b32_e64 v0, v0, v28, s[16:17]
	s_and_saveexec_b64 s[30:31], s[18:19]
	s_cbranch_execz .LBB67_37
; %bb.36:                               ;   in Loop: Header=BB67_14 Depth=1
	ds_write_b32 v65, v0
.LBB67_37:                              ;   in Loop: Header=BB67_14 Depth=1
	s_or_b64 exec, exec, s[30:31]
	s_waitcnt lgkmcnt(0)
	s_barrier
	s_and_saveexec_b64 s[30:31], s[20:21]
	s_cbranch_execz .LBB67_39
; %bb.38:                               ;   in Loop: Header=BB67_14 Depth=1
	ds_read_b32 v28, v30
	s_waitcnt lgkmcnt(0)
	s_nop 0
	v_mov_b32_dpp v29, v28 row_shr:1 row_mask:0xf bank_mask:0xf
	v_add_f32_e32 v29, v28, v29
	v_cndmask_b32_e64 v28, v29, v28, s[22:23]
	s_nop 1
	v_mov_b32_dpp v29, v28 row_shr:2 row_mask:0xf bank_mask:0xf
	v_add_f32_e32 v29, v28, v29
	v_cndmask_b32_e64 v28, v28, v29, s[24:25]
	;; [unrolled: 4-line block ×3, first 2 shown]
	ds_write_b32 v30, v28
.LBB67_39:                              ;   in Loop: Header=BB67_14 Depth=1
	s_or_b64 exec, exec, s[30:31]
	s_waitcnt lgkmcnt(0)
	s_barrier
	s_waitcnt lgkmcnt(0)
                                        ; implicit-def: $vgpr28
	s_and_saveexec_b64 s[30:31], s[2:3]
	s_cbranch_execz .LBB67_41
; %bb.40:                               ;   in Loop: Header=BB67_14 Depth=1
	ds_read_b32 v28, v66
	s_waitcnt lgkmcnt(0)
	v_add_f32_e32 v0, v0, v28
.LBB67_41:                              ;   in Loop: Header=BB67_14 Depth=1
	s_or_b64 exec, exec, s[30:31]
	ds_bpermute_b32 v0, v67, v0
	s_and_saveexec_b64 s[30:31], s[4:5]
	s_cbranch_execz .LBB67_45
; %bb.42:                               ;   in Loop: Header=BB67_14 Depth=1
	ds_read_b32 v29, v1 offset:28
	s_and_saveexec_b64 s[38:39], s[28:29]
	s_cbranch_execz .LBB67_44
; %bb.43:                               ;   in Loop: Header=BB67_14 Depth=1
	ds_write_b32 v1, v31 offset:28
.LBB67_44:                              ;   in Loop: Header=BB67_14 Depth=1
	s_or_b64 exec, exec, s[38:39]
	s_waitcnt lgkmcnt(0)
	v_add_f32_e32 v31, v31, v29
.LBB67_45:                              ;   in Loop: Header=BB67_14 Depth=1
	s_or_b64 exec, exec, s[30:31]
	s_waitcnt lgkmcnt(0)
	s_barrier
	ds_read_b32 v29, v1 offset:28
	v_cndmask_b32_e64 v0, v0, v28, s[0:1]
	v_add_f32_e32 v0, v16, v0
	v_cndmask_b32_e64 v0, v0, v16, s[28:29]
	v_cmp_lt_i64_e32 vcc, s[34:35], v[20:21]
	s_waitcnt lgkmcnt(0)
	v_add_f32_e32 v0, v0, v29
	v_add_f32_e32 v16, v17, v0
	;; [unrolled: 1-line block ×16, first 2 shown]
	v_lshl_add_u64 v[2:3], v[24:25], 0, v[18:19]
	s_barrier
	s_cbranch_vccz .LBB67_68
; %bb.46:                               ;   in Loop: Header=BB67_14 Depth=1
	ds_write2_b32 v64, v0, v16 offset1:1
	ds_write2_b32 v64, v14, v15 offset0:2 offset1:3
	ds_write2_b32 v64, v12, v13 offset0:4 offset1:5
	;; [unrolled: 1-line block ×7, first 2 shown]
	; wave barrier
	ds_read_b32 v82, v48
	ds_read_b32 v81, v49
	;; [unrolled: 1-line block ×16, first 2 shown]
	v_cmp_gt_u32_e32 vcc, s34, v32
	s_and_saveexec_b64 s[30:31], vcc
	s_cbranch_execnz .LBB67_69
; %bb.47:                               ;   in Loop: Header=BB67_14 Depth=1
	s_or_b64 exec, exec, s[30:31]
	v_cmp_gt_u32_e32 vcc, s34, v33
	s_and_saveexec_b64 s[30:31], vcc
	s_cbranch_execnz .LBB67_70
.LBB67_48:                              ;   in Loop: Header=BB67_14 Depth=1
	s_or_b64 exec, exec, s[30:31]
	v_cmp_gt_u32_e32 vcc, s34, v34
	s_and_saveexec_b64 s[30:31], vcc
	s_cbranch_execnz .LBB67_71
.LBB67_49:                              ;   in Loop: Header=BB67_14 Depth=1
	s_or_b64 exec, exec, s[30:31]
	v_cmp_gt_u32_e32 vcc, s34, v35
	s_and_saveexec_b64 s[30:31], vcc
	s_cbranch_execnz .LBB67_72
.LBB67_50:                              ;   in Loop: Header=BB67_14 Depth=1
	s_or_b64 exec, exec, s[30:31]
	v_cmp_gt_u32_e32 vcc, s34, v36
	s_and_saveexec_b64 s[30:31], vcc
	s_cbranch_execnz .LBB67_73
.LBB67_51:                              ;   in Loop: Header=BB67_14 Depth=1
	s_or_b64 exec, exec, s[30:31]
	v_cmp_gt_u32_e32 vcc, s34, v37
	s_and_saveexec_b64 s[30:31], vcc
	s_cbranch_execnz .LBB67_74
.LBB67_52:                              ;   in Loop: Header=BB67_14 Depth=1
	s_or_b64 exec, exec, s[30:31]
	v_cmp_gt_u32_e32 vcc, s34, v38
	s_and_saveexec_b64 s[30:31], vcc
	s_cbranch_execnz .LBB67_75
.LBB67_53:                              ;   in Loop: Header=BB67_14 Depth=1
	s_or_b64 exec, exec, s[30:31]
	v_cmp_gt_u32_e32 vcc, s34, v39
	s_and_saveexec_b64 s[30:31], vcc
	s_cbranch_execnz .LBB67_76
.LBB67_54:                              ;   in Loop: Header=BB67_14 Depth=1
	s_or_b64 exec, exec, s[30:31]
	v_cmp_gt_u32_e32 vcc, s34, v40
	s_and_saveexec_b64 s[30:31], vcc
	s_cbranch_execnz .LBB67_77
.LBB67_55:                              ;   in Loop: Header=BB67_14 Depth=1
	s_or_b64 exec, exec, s[30:31]
	v_cmp_gt_u32_e32 vcc, s34, v41
	s_and_saveexec_b64 s[30:31], vcc
	s_cbranch_execnz .LBB67_78
.LBB67_56:                              ;   in Loop: Header=BB67_14 Depth=1
	s_or_b64 exec, exec, s[30:31]
	v_cmp_gt_u32_e32 vcc, s34, v42
	s_and_saveexec_b64 s[30:31], vcc
	s_cbranch_execnz .LBB67_79
.LBB67_57:                              ;   in Loop: Header=BB67_14 Depth=1
	s_or_b64 exec, exec, s[30:31]
	v_cmp_gt_u32_e32 vcc, s34, v43
	s_and_saveexec_b64 s[30:31], vcc
	s_cbranch_execnz .LBB67_80
.LBB67_58:                              ;   in Loop: Header=BB67_14 Depth=1
	s_or_b64 exec, exec, s[30:31]
	v_cmp_gt_u32_e32 vcc, s34, v44
	s_and_saveexec_b64 s[30:31], vcc
	s_cbranch_execnz .LBB67_81
.LBB67_59:                              ;   in Loop: Header=BB67_14 Depth=1
	s_or_b64 exec, exec, s[30:31]
	v_cmp_gt_u32_e32 vcc, s34, v45
	s_and_saveexec_b64 s[30:31], vcc
	s_cbranch_execnz .LBB67_82
.LBB67_60:                              ;   in Loop: Header=BB67_14 Depth=1
	s_or_b64 exec, exec, s[30:31]
	v_cmp_gt_u32_e32 vcc, s34, v46
	s_and_saveexec_b64 s[30:31], vcc
	s_cbranch_execz .LBB67_62
.LBB67_61:                              ;   in Loop: Header=BB67_14 Depth=1
	s_waitcnt lgkmcnt(1)
	global_store_dword v[2:3], v68, off offset:-256
.LBB67_62:                              ;   in Loop: Header=BB67_14 Depth=1
	s_or_b64 exec, exec, s[30:31]
	v_cmp_gt_u32_e64 s[30:31], s34, v47
	s_branch .LBB67_64
.LBB67_63:                              ;   in Loop: Header=BB67_14 Depth=1
	ds_write2_b32 v64, v0, v16 offset1:1
	ds_write2_b32 v64, v14, v15 offset0:2 offset1:3
	ds_write2_b32 v64, v12, v13 offset0:4 offset1:5
	;; [unrolled: 1-line block ×7, first 2 shown]
	; wave barrier
	ds_read_b32 v0, v48
	ds_read_b32 v4, v49
	ds_read_b32 v5, v50
	ds_read_b32 v6, v51
	ds_read_b32 v7, v52
	ds_read_b32 v8, v53
	ds_read_b32 v9, v54
	ds_read_b32 v10, v55
	ds_read_b32 v11, v56
	ds_read_b32 v12, v57
	ds_read_b32 v13, v58
	ds_read_b32 v14, v59
	ds_read_b32 v15, v60
	ds_read_b32 v16, v61
	ds_read_b32 v17, v62
	s_waitcnt lgkmcnt(14)
	ds_read_b32 v29, v63
	s_or_b64 s[30:31], s[30:31], exec
	global_store_dword v[2:3], v0, off offset:-3840
	s_waitcnt lgkmcnt(14)
	global_store_dword v[2:3], v4, off offset:-3584
	s_waitcnt lgkmcnt(13)
	;; [unrolled: 2-line block ×14, first 2 shown]
	global_store_dword v[2:3], v17, off offset:-256
.LBB67_64:                              ;   in Loop: Header=BB67_14 Depth=1
	s_and_saveexec_b64 s[38:39], s[30:31]
	s_cbranch_execz .LBB67_66
; %bb.65:                               ;   in Loop: Header=BB67_14 Depth=1
	s_waitcnt lgkmcnt(0)
	global_store_dword v[2:3], v29, off
.LBB67_66:                              ;   in Loop: Header=BB67_14 Depth=1
	s_or_b64 exec, exec, s[38:39]
	v_mov_b64_e32 v[2:3], 0x2001
	v_cmp_lt_i64_e32 vcc, s[34:35], v[2:3]
	s_cbranch_vccz .LBB67_13
; %bb.67:
                                        ; implicit-def: $vgpr31
                                        ; implicit-def: $sgpr34_sgpr35
                                        ; implicit-def: $sgpr33
                                        ; implicit-def: $vgpr24_vgpr25
                                        ; implicit-def: $vgpr26_vgpr27
	s_branch .LBB67_98
.LBB67_68:                              ;   in Loop: Header=BB67_14 Depth=1
	s_mov_b64 s[30:31], 0
                                        ; implicit-def: $vgpr29
	s_cbranch_execnz .LBB67_63
	s_branch .LBB67_64
.LBB67_69:                              ;   in Loop: Header=BB67_14 Depth=1
	s_waitcnt lgkmcnt(14)
	global_store_dword v[2:3], v82, off offset:-3840
	s_or_b64 exec, exec, s[30:31]
	v_cmp_gt_u32_e32 vcc, s34, v33
	s_and_saveexec_b64 s[30:31], vcc
	s_cbranch_execz .LBB67_48
.LBB67_70:                              ;   in Loop: Header=BB67_14 Depth=1
	s_waitcnt lgkmcnt(14)
	global_store_dword v[2:3], v81, off offset:-3584
	s_or_b64 exec, exec, s[30:31]
	v_cmp_gt_u32_e32 vcc, s34, v34
	s_and_saveexec_b64 s[30:31], vcc
	s_cbranch_execz .LBB67_49
.LBB67_71:                              ;   in Loop: Header=BB67_14 Depth=1
	s_waitcnt lgkmcnt(13)
	global_store_dword v[2:3], v80, off offset:-3328
	s_or_b64 exec, exec, s[30:31]
	v_cmp_gt_u32_e32 vcc, s34, v35
	s_and_saveexec_b64 s[30:31], vcc
	s_cbranch_execz .LBB67_50
.LBB67_72:                              ;   in Loop: Header=BB67_14 Depth=1
	s_waitcnt lgkmcnt(12)
	global_store_dword v[2:3], v79, off offset:-3072
	s_or_b64 exec, exec, s[30:31]
	v_cmp_gt_u32_e32 vcc, s34, v36
	s_and_saveexec_b64 s[30:31], vcc
	s_cbranch_execz .LBB67_51
.LBB67_73:                              ;   in Loop: Header=BB67_14 Depth=1
	s_waitcnt lgkmcnt(11)
	global_store_dword v[2:3], v78, off offset:-2816
	s_or_b64 exec, exec, s[30:31]
	v_cmp_gt_u32_e32 vcc, s34, v37
	s_and_saveexec_b64 s[30:31], vcc
	s_cbranch_execz .LBB67_52
.LBB67_74:                              ;   in Loop: Header=BB67_14 Depth=1
	s_waitcnt lgkmcnt(10)
	global_store_dword v[2:3], v77, off offset:-2560
	s_or_b64 exec, exec, s[30:31]
	v_cmp_gt_u32_e32 vcc, s34, v38
	s_and_saveexec_b64 s[30:31], vcc
	s_cbranch_execz .LBB67_53
.LBB67_75:                              ;   in Loop: Header=BB67_14 Depth=1
	s_waitcnt lgkmcnt(9)
	global_store_dword v[2:3], v76, off offset:-2304
	s_or_b64 exec, exec, s[30:31]
	v_cmp_gt_u32_e32 vcc, s34, v39
	s_and_saveexec_b64 s[30:31], vcc
	s_cbranch_execz .LBB67_54
.LBB67_76:                              ;   in Loop: Header=BB67_14 Depth=1
	s_waitcnt lgkmcnt(8)
	global_store_dword v[2:3], v75, off offset:-2048
	s_or_b64 exec, exec, s[30:31]
	v_cmp_gt_u32_e32 vcc, s34, v40
	s_and_saveexec_b64 s[30:31], vcc
	s_cbranch_execz .LBB67_55
.LBB67_77:                              ;   in Loop: Header=BB67_14 Depth=1
	s_waitcnt lgkmcnt(7)
	global_store_dword v[2:3], v74, off offset:-1792
	s_or_b64 exec, exec, s[30:31]
	v_cmp_gt_u32_e32 vcc, s34, v41
	s_and_saveexec_b64 s[30:31], vcc
	s_cbranch_execz .LBB67_56
.LBB67_78:                              ;   in Loop: Header=BB67_14 Depth=1
	s_waitcnt lgkmcnt(6)
	global_store_dword v[2:3], v73, off offset:-1536
	s_or_b64 exec, exec, s[30:31]
	v_cmp_gt_u32_e32 vcc, s34, v42
	s_and_saveexec_b64 s[30:31], vcc
	s_cbranch_execz .LBB67_57
.LBB67_79:                              ;   in Loop: Header=BB67_14 Depth=1
	s_waitcnt lgkmcnt(5)
	global_store_dword v[2:3], v72, off offset:-1280
	s_or_b64 exec, exec, s[30:31]
	v_cmp_gt_u32_e32 vcc, s34, v43
	s_and_saveexec_b64 s[30:31], vcc
	s_cbranch_execz .LBB67_58
.LBB67_80:                              ;   in Loop: Header=BB67_14 Depth=1
	s_waitcnt lgkmcnt(4)
	global_store_dword v[2:3], v71, off offset:-1024
	s_or_b64 exec, exec, s[30:31]
	v_cmp_gt_u32_e32 vcc, s34, v44
	s_and_saveexec_b64 s[30:31], vcc
	s_cbranch_execz .LBB67_59
.LBB67_81:                              ;   in Loop: Header=BB67_14 Depth=1
	s_waitcnt lgkmcnt(3)
	global_store_dword v[2:3], v70, off offset:-768
	s_or_b64 exec, exec, s[30:31]
	v_cmp_gt_u32_e32 vcc, s34, v45
	s_and_saveexec_b64 s[30:31], vcc
	s_cbranch_execz .LBB67_60
.LBB67_82:                              ;   in Loop: Header=BB67_14 Depth=1
	s_waitcnt lgkmcnt(2)
	global_store_dword v[2:3], v69, off offset:-512
	s_or_b64 exec, exec, s[30:31]
	v_cmp_gt_u32_e32 vcc, s34, v46
	s_and_saveexec_b64 s[30:31], vcc
	s_cbranch_execnz .LBB67_61
	s_branch .LBB67_62
.LBB67_83:                              ;   in Loop: Header=BB67_14 Depth=1
	global_load_dword v0, v[28:29], off
	v_mov_b32_e32 v2, v1
	v_mov_b32_e32 v3, v1
	;; [unrolled: 1-line block ×14, first 2 shown]
	s_waitcnt vmcnt(0)
	v_mov_b64_e32 v[16:17], v[14:15]
	v_mov_b64_e32 v[14:15], v[12:13]
	;; [unrolled: 1-line block ×8, first 2 shown]
	s_or_b64 exec, exec, s[38:39]
	v_cmp_gt_u32_e32 vcc, s34, v33
	s_and_saveexec_b64 s[30:31], vcc
	s_cbranch_execz .LBB67_17
.LBB67_84:                              ;   in Loop: Header=BB67_14 Depth=1
	global_load_dword v3, v[28:29], off offset:256
	s_or_b64 exec, exec, s[30:31]
	v_cmp_gt_u32_e32 vcc, s34, v34
	s_and_saveexec_b64 s[30:31], vcc
	s_cbranch_execz .LBB67_18
.LBB67_85:                              ;   in Loop: Header=BB67_14 Depth=1
	global_load_dword v4, v[28:29], off offset:512
	s_or_b64 exec, exec, s[30:31]
	v_cmp_gt_u32_e32 vcc, s34, v35
	s_and_saveexec_b64 s[30:31], vcc
	s_cbranch_execz .LBB67_19
.LBB67_86:                              ;   in Loop: Header=BB67_14 Depth=1
	global_load_dword v5, v[28:29], off offset:768
	s_or_b64 exec, exec, s[30:31]
	v_cmp_gt_u32_e32 vcc, s34, v36
	s_and_saveexec_b64 s[30:31], vcc
	s_cbranch_execz .LBB67_20
.LBB67_87:                              ;   in Loop: Header=BB67_14 Depth=1
	global_load_dword v6, v[28:29], off offset:1024
	s_or_b64 exec, exec, s[30:31]
	v_cmp_gt_u32_e32 vcc, s34, v37
	s_and_saveexec_b64 s[30:31], vcc
	s_cbranch_execz .LBB67_21
.LBB67_88:                              ;   in Loop: Header=BB67_14 Depth=1
	global_load_dword v7, v[28:29], off offset:1280
	s_or_b64 exec, exec, s[30:31]
	v_cmp_gt_u32_e32 vcc, s34, v38
	s_and_saveexec_b64 s[30:31], vcc
	s_cbranch_execz .LBB67_22
.LBB67_89:                              ;   in Loop: Header=BB67_14 Depth=1
	global_load_dword v8, v[28:29], off offset:1536
	s_or_b64 exec, exec, s[30:31]
	v_cmp_gt_u32_e32 vcc, s34, v39
	s_and_saveexec_b64 s[30:31], vcc
	s_cbranch_execz .LBB67_23
.LBB67_90:                              ;   in Loop: Header=BB67_14 Depth=1
	global_load_dword v9, v[28:29], off offset:1792
	s_or_b64 exec, exec, s[30:31]
	v_cmp_gt_u32_e32 vcc, s34, v40
	s_and_saveexec_b64 s[30:31], vcc
	s_cbranch_execz .LBB67_24
.LBB67_91:                              ;   in Loop: Header=BB67_14 Depth=1
	global_load_dword v10, v[28:29], off offset:2048
	s_or_b64 exec, exec, s[30:31]
	v_cmp_gt_u32_e32 vcc, s34, v41
	s_and_saveexec_b64 s[30:31], vcc
	s_cbranch_execz .LBB67_25
.LBB67_92:                              ;   in Loop: Header=BB67_14 Depth=1
	global_load_dword v11, v[28:29], off offset:2304
	s_or_b64 exec, exec, s[30:31]
	v_cmp_gt_u32_e32 vcc, s34, v42
	s_and_saveexec_b64 s[30:31], vcc
	s_cbranch_execz .LBB67_26
.LBB67_93:                              ;   in Loop: Header=BB67_14 Depth=1
	global_load_dword v12, v[28:29], off offset:2560
	s_or_b64 exec, exec, s[30:31]
	v_cmp_gt_u32_e32 vcc, s34, v43
	s_and_saveexec_b64 s[30:31], vcc
	s_cbranch_execz .LBB67_27
.LBB67_94:                              ;   in Loop: Header=BB67_14 Depth=1
	global_load_dword v13, v[28:29], off offset:2816
	s_or_b64 exec, exec, s[30:31]
	v_cmp_gt_u32_e32 vcc, s34, v44
	s_and_saveexec_b64 s[30:31], vcc
	s_cbranch_execz .LBB67_28
.LBB67_95:                              ;   in Loop: Header=BB67_14 Depth=1
	global_load_dword v14, v[28:29], off offset:3072
	s_or_b64 exec, exec, s[30:31]
	v_cmp_gt_u32_e32 vcc, s34, v45
	s_and_saveexec_b64 s[30:31], vcc
	s_cbranch_execz .LBB67_29
.LBB67_96:                              ;   in Loop: Header=BB67_14 Depth=1
	global_load_dword v15, v[28:29], off offset:3328
	s_or_b64 exec, exec, s[30:31]
	v_cmp_gt_u32_e32 vcc, s34, v46
	s_and_saveexec_b64 s[30:31], vcc
	s_cbranch_execz .LBB67_30
.LBB67_97:                              ;   in Loop: Header=BB67_14 Depth=1
	global_load_dword v16, v[28:29], off offset:3584
	s_or_b64 exec, exec, s[30:31]
	v_cmp_gt_u32_e32 vcc, s34, v47
	s_and_saveexec_b64 s[30:31], vcc
	s_cbranch_execnz .LBB67_31
	s_branch .LBB67_32
.LBB67_98:
	s_endpgm
	.section	.rodata,"a",@progbits
	.p2align	6, 0x0
	.amdhsa_kernel _ZN2at4cuda3cub17final_scan_kernelILi512ELi16EfEEvPKT1_PS3_S6_li
		.amdhsa_group_segment_fixed_size 33792
		.amdhsa_private_segment_fixed_size 0
		.amdhsa_kernarg_size 296
		.amdhsa_user_sgpr_count 2
		.amdhsa_user_sgpr_dispatch_ptr 0
		.amdhsa_user_sgpr_queue_ptr 0
		.amdhsa_user_sgpr_kernarg_segment_ptr 1
		.amdhsa_user_sgpr_dispatch_id 0
		.amdhsa_user_sgpr_kernarg_preload_length 0
		.amdhsa_user_sgpr_kernarg_preload_offset 0
		.amdhsa_user_sgpr_private_segment_size 0
		.amdhsa_uses_dynamic_stack 0
		.amdhsa_enable_private_segment 0
		.amdhsa_system_sgpr_workgroup_id_x 1
		.amdhsa_system_sgpr_workgroup_id_y 0
		.amdhsa_system_sgpr_workgroup_id_z 0
		.amdhsa_system_sgpr_workgroup_info 0
		.amdhsa_system_vgpr_workitem_id 0
		.amdhsa_next_free_vgpr 83
		.amdhsa_next_free_sgpr 54
		.amdhsa_accum_offset 84
		.amdhsa_reserve_vcc 1
		.amdhsa_float_round_mode_32 0
		.amdhsa_float_round_mode_16_64 0
		.amdhsa_float_denorm_mode_32 3
		.amdhsa_float_denorm_mode_16_64 3
		.amdhsa_dx10_clamp 1
		.amdhsa_ieee_mode 1
		.amdhsa_fp16_overflow 0
		.amdhsa_tg_split 0
		.amdhsa_exception_fp_ieee_invalid_op 0
		.amdhsa_exception_fp_denorm_src 0
		.amdhsa_exception_fp_ieee_div_zero 0
		.amdhsa_exception_fp_ieee_overflow 0
		.amdhsa_exception_fp_ieee_underflow 0
		.amdhsa_exception_fp_ieee_inexact 0
		.amdhsa_exception_int_div_zero 0
	.end_amdhsa_kernel
	.section	.text._ZN2at4cuda3cub17final_scan_kernelILi512ELi16EfEEvPKT1_PS3_S6_li,"axG",@progbits,_ZN2at4cuda3cub17final_scan_kernelILi512ELi16EfEEvPKT1_PS3_S6_li,comdat
.Lfunc_end67:
	.size	_ZN2at4cuda3cub17final_scan_kernelILi512ELi16EfEEvPKT1_PS3_S6_li, .Lfunc_end67-_ZN2at4cuda3cub17final_scan_kernelILi512ELi16EfEEvPKT1_PS3_S6_li
                                        ; -- End function
	.section	.AMDGPU.csdata,"",@progbits
; Kernel info:
; codeLenInByte = 4452
; NumSgprs: 60
; NumVgprs: 83
; NumAgprs: 0
; TotalNumVgprs: 83
; ScratchSize: 0
; MemoryBound: 0
; FloatMode: 240
; IeeeMode: 1
; LDSByteSize: 33792 bytes/workgroup (compile time only)
; SGPRBlocks: 7
; VGPRBlocks: 10
; NumSGPRsForWavesPerEU: 60
; NumVGPRsForWavesPerEU: 83
; AccumOffset: 84
; Occupancy: 4
; WaveLimiterHint : 1
; COMPUTE_PGM_RSRC2:SCRATCH_EN: 0
; COMPUTE_PGM_RSRC2:USER_SGPR: 2
; COMPUTE_PGM_RSRC2:TRAP_HANDLER: 0
; COMPUTE_PGM_RSRC2:TGID_X_EN: 1
; COMPUTE_PGM_RSRC2:TGID_Y_EN: 0
; COMPUTE_PGM_RSRC2:TGID_Z_EN: 0
; COMPUTE_PGM_RSRC2:TIDIG_COMP_CNT: 0
; COMPUTE_PGM_RSRC3_GFX90A:ACCUM_OFFSET: 20
; COMPUTE_PGM_RSRC3_GFX90A:TG_SPLIT: 0
	.section	.text._ZN7rocprim17ROCPRIM_304000_NS6detail31init_lookback_scan_state_kernelINS1_19lookback_scan_stateIfLb1ELb1EEEEEvT_jjPNS5_10value_typeE,"axG",@progbits,_ZN7rocprim17ROCPRIM_304000_NS6detail31init_lookback_scan_state_kernelINS1_19lookback_scan_stateIfLb1ELb1EEEEEvT_jjPNS5_10value_typeE,comdat
	.protected	_ZN7rocprim17ROCPRIM_304000_NS6detail31init_lookback_scan_state_kernelINS1_19lookback_scan_stateIfLb1ELb1EEEEEvT_jjPNS5_10value_typeE ; -- Begin function _ZN7rocprim17ROCPRIM_304000_NS6detail31init_lookback_scan_state_kernelINS1_19lookback_scan_stateIfLb1ELb1EEEEEvT_jjPNS5_10value_typeE
	.globl	_ZN7rocprim17ROCPRIM_304000_NS6detail31init_lookback_scan_state_kernelINS1_19lookback_scan_stateIfLb1ELb1EEEEEvT_jjPNS5_10value_typeE
	.p2align	8
	.type	_ZN7rocprim17ROCPRIM_304000_NS6detail31init_lookback_scan_state_kernelINS1_19lookback_scan_stateIfLb1ELb1EEEEEvT_jjPNS5_10value_typeE,@function
_ZN7rocprim17ROCPRIM_304000_NS6detail31init_lookback_scan_state_kernelINS1_19lookback_scan_stateIfLb1ELb1EEEEEvT_jjPNS5_10value_typeE: ; @_ZN7rocprim17ROCPRIM_304000_NS6detail31init_lookback_scan_state_kernelINS1_19lookback_scan_stateIfLb1ELb1EEEEEvT_jjPNS5_10value_typeE
; %bb.0:
	s_load_dword s3, s[0:1], 0x24
	s_load_dwordx2 s[8:9], s[0:1], 0x10
	s_load_dwordx4 s[4:7], s[0:1], 0x0
	s_waitcnt lgkmcnt(0)
	s_and_b32 s0, s3, 0xffff
	s_mul_i32 s2, s2, s0
	s_cmp_eq_u64 s[8:9], 0
	v_add_u32_e32 v0, s2, v0
	s_cbranch_scc1 .LBB68_9
; %bb.1:
	s_cmp_lt_u32 s7, s6
	s_cselect_b32 s0, s7, 0
	s_mov_b32 s3, 0
	v_cmp_eq_u32_e32 vcc, s0, v0
	s_and_saveexec_b64 s[0:1], vcc
	s_cbranch_execz .LBB68_8
; %bb.2:
	s_add_i32 s2, s7, 64
	s_lshl_b64 s[2:3], s[2:3], 3
	s_add_u32 s2, s4, s2
	s_addc_u32 s3, s5, s3
	v_mov_b32_e32 v2, 0
	global_load_dwordx2 v[4:5], v2, s[2:3] sc1
	s_waitcnt vmcnt(0)
	v_and_b32_e32 v3, 0xff, v5
	v_cmp_ne_u64_e32 vcc, 0, v[2:3]
	s_cbranch_vccnz .LBB68_7
; %bb.3:
	s_mov_b32 s7, 1
.LBB68_4:                               ; =>This Loop Header: Depth=1
                                        ;     Child Loop BB68_5 Depth 2
	s_max_u32 s10, s7, 1
.LBB68_5:                               ;   Parent Loop BB68_4 Depth=1
                                        ; =>  This Inner Loop Header: Depth=2
	s_add_i32 s10, s10, -1
	s_cmp_eq_u32 s10, 0
	s_sleep 1
	s_cbranch_scc0 .LBB68_5
; %bb.6:                                ;   in Loop: Header=BB68_4 Depth=1
	global_load_dwordx2 v[4:5], v2, s[2:3] sc1
	s_cmp_lt_u32 s7, 32
	s_cselect_b64 s[10:11], -1, 0
	s_cmp_lg_u64 s[10:11], 0
	s_addc_u32 s7, s7, 0
	s_waitcnt vmcnt(0)
	v_and_b32_e32 v3, 0xff, v5
	v_cmp_ne_u64_e32 vcc, 0, v[2:3]
	s_cbranch_vccz .LBB68_4
.LBB68_7:
	v_mov_b32_e32 v1, 0
	global_store_dword v1, v4, s[8:9]
.LBB68_8:
	s_or_b64 exec, exec, s[0:1]
.LBB68_9:
	v_cmp_gt_u32_e32 vcc, s6, v0
	s_and_saveexec_b64 s[0:1], vcc
	s_cbranch_execnz .LBB68_12
; %bb.10:
	s_or_b64 exec, exec, s[0:1]
	v_cmp_gt_u32_e32 vcc, 64, v0
	s_and_saveexec_b64 s[0:1], vcc
	s_cbranch_execnz .LBB68_13
.LBB68_11:
	s_endpgm
.LBB68_12:
	v_add_u32_e32 v2, 64, v0
	v_mov_b32_e32 v3, 0
	v_lshl_add_u64 v[4:5], v[2:3], 3, s[4:5]
	v_mov_b32_e32 v2, v3
	global_store_dwordx2 v[4:5], v[2:3], off
	s_or_b64 exec, exec, s[0:1]
	v_cmp_gt_u32_e32 vcc, 64, v0
	s_and_saveexec_b64 s[0:1], vcc
	s_cbranch_execz .LBB68_11
.LBB68_13:
	v_mov_b32_e32 v1, 0
	v_lshl_add_u64 v[2:3], v[0:1], 3, s[4:5]
	v_mov_b32_e32 v5, 0xff
	v_mov_b32_e32 v4, v1
	global_store_dwordx2 v[2:3], v[4:5], off
	s_endpgm
	.section	.rodata,"a",@progbits
	.p2align	6, 0x0
	.amdhsa_kernel _ZN7rocprim17ROCPRIM_304000_NS6detail31init_lookback_scan_state_kernelINS1_19lookback_scan_stateIfLb1ELb1EEEEEvT_jjPNS5_10value_typeE
		.amdhsa_group_segment_fixed_size 0
		.amdhsa_private_segment_fixed_size 0
		.amdhsa_kernarg_size 280
		.amdhsa_user_sgpr_count 2
		.amdhsa_user_sgpr_dispatch_ptr 0
		.amdhsa_user_sgpr_queue_ptr 0
		.amdhsa_user_sgpr_kernarg_segment_ptr 1
		.amdhsa_user_sgpr_dispatch_id 0
		.amdhsa_user_sgpr_kernarg_preload_length 0
		.amdhsa_user_sgpr_kernarg_preload_offset 0
		.amdhsa_user_sgpr_private_segment_size 0
		.amdhsa_uses_dynamic_stack 0
		.amdhsa_enable_private_segment 0
		.amdhsa_system_sgpr_workgroup_id_x 1
		.amdhsa_system_sgpr_workgroup_id_y 0
		.amdhsa_system_sgpr_workgroup_id_z 0
		.amdhsa_system_sgpr_workgroup_info 0
		.amdhsa_system_vgpr_workitem_id 0
		.amdhsa_next_free_vgpr 6
		.amdhsa_next_free_sgpr 12
		.amdhsa_accum_offset 8
		.amdhsa_reserve_vcc 1
		.amdhsa_float_round_mode_32 0
		.amdhsa_float_round_mode_16_64 0
		.amdhsa_float_denorm_mode_32 3
		.amdhsa_float_denorm_mode_16_64 3
		.amdhsa_dx10_clamp 1
		.amdhsa_ieee_mode 1
		.amdhsa_fp16_overflow 0
		.amdhsa_tg_split 0
		.amdhsa_exception_fp_ieee_invalid_op 0
		.amdhsa_exception_fp_denorm_src 0
		.amdhsa_exception_fp_ieee_div_zero 0
		.amdhsa_exception_fp_ieee_overflow 0
		.amdhsa_exception_fp_ieee_underflow 0
		.amdhsa_exception_fp_ieee_inexact 0
		.amdhsa_exception_int_div_zero 0
	.end_amdhsa_kernel
	.section	.text._ZN7rocprim17ROCPRIM_304000_NS6detail31init_lookback_scan_state_kernelINS1_19lookback_scan_stateIfLb1ELb1EEEEEvT_jjPNS5_10value_typeE,"axG",@progbits,_ZN7rocprim17ROCPRIM_304000_NS6detail31init_lookback_scan_state_kernelINS1_19lookback_scan_stateIfLb1ELb1EEEEEvT_jjPNS5_10value_typeE,comdat
.Lfunc_end68:
	.size	_ZN7rocprim17ROCPRIM_304000_NS6detail31init_lookback_scan_state_kernelINS1_19lookback_scan_stateIfLb1ELb1EEEEEvT_jjPNS5_10value_typeE, .Lfunc_end68-_ZN7rocprim17ROCPRIM_304000_NS6detail31init_lookback_scan_state_kernelINS1_19lookback_scan_stateIfLb1ELb1EEEEEvT_jjPNS5_10value_typeE
                                        ; -- End function
	.section	.AMDGPU.csdata,"",@progbits
; Kernel info:
; codeLenInByte = 320
; NumSgprs: 18
; NumVgprs: 6
; NumAgprs: 0
; TotalNumVgprs: 6
; ScratchSize: 0
; MemoryBound: 0
; FloatMode: 240
; IeeeMode: 1
; LDSByteSize: 0 bytes/workgroup (compile time only)
; SGPRBlocks: 2
; VGPRBlocks: 0
; NumSGPRsForWavesPerEU: 18
; NumVGPRsForWavesPerEU: 6
; AccumOffset: 8
; Occupancy: 8
; WaveLimiterHint : 0
; COMPUTE_PGM_RSRC2:SCRATCH_EN: 0
; COMPUTE_PGM_RSRC2:USER_SGPR: 2
; COMPUTE_PGM_RSRC2:TRAP_HANDLER: 0
; COMPUTE_PGM_RSRC2:TGID_X_EN: 1
; COMPUTE_PGM_RSRC2:TGID_Y_EN: 0
; COMPUTE_PGM_RSRC2:TGID_Z_EN: 0
; COMPUTE_PGM_RSRC2:TIDIG_COMP_CNT: 0
; COMPUTE_PGM_RSRC3_GFX90A:ACCUM_OFFSET: 1
; COMPUTE_PGM_RSRC3_GFX90A:TG_SPLIT: 0
	.section	.text._ZN7rocprim17ROCPRIM_304000_NS6detail31init_lookback_scan_state_kernelINS1_19lookback_scan_stateIfLb0ELb1EEEEEvT_jjPNS5_10value_typeE,"axG",@progbits,_ZN7rocprim17ROCPRIM_304000_NS6detail31init_lookback_scan_state_kernelINS1_19lookback_scan_stateIfLb0ELb1EEEEEvT_jjPNS5_10value_typeE,comdat
	.protected	_ZN7rocprim17ROCPRIM_304000_NS6detail31init_lookback_scan_state_kernelINS1_19lookback_scan_stateIfLb0ELb1EEEEEvT_jjPNS5_10value_typeE ; -- Begin function _ZN7rocprim17ROCPRIM_304000_NS6detail31init_lookback_scan_state_kernelINS1_19lookback_scan_stateIfLb0ELb1EEEEEvT_jjPNS5_10value_typeE
	.globl	_ZN7rocprim17ROCPRIM_304000_NS6detail31init_lookback_scan_state_kernelINS1_19lookback_scan_stateIfLb0ELb1EEEEEvT_jjPNS5_10value_typeE
	.p2align	8
	.type	_ZN7rocprim17ROCPRIM_304000_NS6detail31init_lookback_scan_state_kernelINS1_19lookback_scan_stateIfLb0ELb1EEEEEvT_jjPNS5_10value_typeE,@function
_ZN7rocprim17ROCPRIM_304000_NS6detail31init_lookback_scan_state_kernelINS1_19lookback_scan_stateIfLb0ELb1EEEEEvT_jjPNS5_10value_typeE: ; @_ZN7rocprim17ROCPRIM_304000_NS6detail31init_lookback_scan_state_kernelINS1_19lookback_scan_stateIfLb0ELb1EEEEEvT_jjPNS5_10value_typeE
; %bb.0:
	s_load_dword s3, s[0:1], 0x24
	s_load_dwordx2 s[8:9], s[0:1], 0x10
	s_load_dwordx4 s[4:7], s[0:1], 0x0
	s_waitcnt lgkmcnt(0)
	s_and_b32 s0, s3, 0xffff
	s_mul_i32 s2, s2, s0
	s_cmp_eq_u64 s[8:9], 0
	v_add_u32_e32 v0, s2, v0
	s_cbranch_scc1 .LBB69_6
; %bb.1:
	s_cmp_lt_u32 s7, s6
	s_cselect_b32 s0, s7, 0
	s_mov_b32 s3, 0
	v_cmp_eq_u32_e32 vcc, s0, v0
	s_and_saveexec_b64 s[0:1], vcc
	s_cbranch_execz .LBB69_5
; %bb.2:
	s_add_i32 s2, s7, 64
	s_lshl_b64 s[2:3], s[2:3], 3
	s_add_u32 s2, s4, s2
	s_addc_u32 s3, s5, s3
	v_mov_b32_e32 v4, 0
	global_load_dwordx2 v[2:3], v4, s[2:3] sc1
	s_waitcnt vmcnt(0)
	v_and_b32_e32 v5, 0xff, v3
	v_cmp_ne_u64_e32 vcc, 0, v[4:5]
	s_cbranch_vccnz .LBB69_4
.LBB69_3:                               ; =>This Inner Loop Header: Depth=1
	global_load_dwordx2 v[2:3], v4, s[2:3] sc1
	s_waitcnt vmcnt(0)
	v_and_b32_e32 v5, 0xff, v3
	v_cmp_eq_u64_e32 vcc, 0, v[4:5]
	s_cbranch_vccnz .LBB69_3
.LBB69_4:
	v_mov_b32_e32 v1, 0
	global_store_dword v1, v2, s[8:9]
.LBB69_5:
	s_or_b64 exec, exec, s[0:1]
.LBB69_6:
	v_cmp_gt_u32_e32 vcc, s6, v0
	s_and_saveexec_b64 s[0:1], vcc
	s_cbranch_execnz .LBB69_9
; %bb.7:
	s_or_b64 exec, exec, s[0:1]
	v_cmp_gt_u32_e32 vcc, 64, v0
	s_and_saveexec_b64 s[0:1], vcc
	s_cbranch_execnz .LBB69_10
.LBB69_8:
	s_endpgm
.LBB69_9:
	v_add_u32_e32 v2, 64, v0
	v_mov_b32_e32 v3, 0
	v_lshl_add_u64 v[4:5], v[2:3], 3, s[4:5]
	v_mov_b32_e32 v2, v3
	global_store_dwordx2 v[4:5], v[2:3], off
	s_or_b64 exec, exec, s[0:1]
	v_cmp_gt_u32_e32 vcc, 64, v0
	s_and_saveexec_b64 s[0:1], vcc
	s_cbranch_execz .LBB69_8
.LBB69_10:
	v_mov_b32_e32 v1, 0
	v_lshl_add_u64 v[2:3], v[0:1], 3, s[4:5]
	v_mov_b32_e32 v5, 0xff
	v_mov_b32_e32 v4, v1
	global_store_dwordx2 v[2:3], v[4:5], off
	s_endpgm
	.section	.rodata,"a",@progbits
	.p2align	6, 0x0
	.amdhsa_kernel _ZN7rocprim17ROCPRIM_304000_NS6detail31init_lookback_scan_state_kernelINS1_19lookback_scan_stateIfLb0ELb1EEEEEvT_jjPNS5_10value_typeE
		.amdhsa_group_segment_fixed_size 0
		.amdhsa_private_segment_fixed_size 0
		.amdhsa_kernarg_size 280
		.amdhsa_user_sgpr_count 2
		.amdhsa_user_sgpr_dispatch_ptr 0
		.amdhsa_user_sgpr_queue_ptr 0
		.amdhsa_user_sgpr_kernarg_segment_ptr 1
		.amdhsa_user_sgpr_dispatch_id 0
		.amdhsa_user_sgpr_kernarg_preload_length 0
		.amdhsa_user_sgpr_kernarg_preload_offset 0
		.amdhsa_user_sgpr_private_segment_size 0
		.amdhsa_uses_dynamic_stack 0
		.amdhsa_enable_private_segment 0
		.amdhsa_system_sgpr_workgroup_id_x 1
		.amdhsa_system_sgpr_workgroup_id_y 0
		.amdhsa_system_sgpr_workgroup_id_z 0
		.amdhsa_system_sgpr_workgroup_info 0
		.amdhsa_system_vgpr_workitem_id 0
		.amdhsa_next_free_vgpr 6
		.amdhsa_next_free_sgpr 10
		.amdhsa_accum_offset 8
		.amdhsa_reserve_vcc 1
		.amdhsa_float_round_mode_32 0
		.amdhsa_float_round_mode_16_64 0
		.amdhsa_float_denorm_mode_32 3
		.amdhsa_float_denorm_mode_16_64 3
		.amdhsa_dx10_clamp 1
		.amdhsa_ieee_mode 1
		.amdhsa_fp16_overflow 0
		.amdhsa_tg_split 0
		.amdhsa_exception_fp_ieee_invalid_op 0
		.amdhsa_exception_fp_denorm_src 0
		.amdhsa_exception_fp_ieee_div_zero 0
		.amdhsa_exception_fp_ieee_overflow 0
		.amdhsa_exception_fp_ieee_underflow 0
		.amdhsa_exception_fp_ieee_inexact 0
		.amdhsa_exception_int_div_zero 0
	.end_amdhsa_kernel
	.section	.text._ZN7rocprim17ROCPRIM_304000_NS6detail31init_lookback_scan_state_kernelINS1_19lookback_scan_stateIfLb0ELb1EEEEEvT_jjPNS5_10value_typeE,"axG",@progbits,_ZN7rocprim17ROCPRIM_304000_NS6detail31init_lookback_scan_state_kernelINS1_19lookback_scan_stateIfLb0ELb1EEEEEvT_jjPNS5_10value_typeE,comdat
.Lfunc_end69:
	.size	_ZN7rocprim17ROCPRIM_304000_NS6detail31init_lookback_scan_state_kernelINS1_19lookback_scan_stateIfLb0ELb1EEEEEvT_jjPNS5_10value_typeE, .Lfunc_end69-_ZN7rocprim17ROCPRIM_304000_NS6detail31init_lookback_scan_state_kernelINS1_19lookback_scan_stateIfLb0ELb1EEEEEvT_jjPNS5_10value_typeE
                                        ; -- End function
	.section	.AMDGPU.csdata,"",@progbits
; Kernel info:
; codeLenInByte = 280
; NumSgprs: 16
; NumVgprs: 6
; NumAgprs: 0
; TotalNumVgprs: 6
; ScratchSize: 0
; MemoryBound: 0
; FloatMode: 240
; IeeeMode: 1
; LDSByteSize: 0 bytes/workgroup (compile time only)
; SGPRBlocks: 1
; VGPRBlocks: 0
; NumSGPRsForWavesPerEU: 16
; NumVGPRsForWavesPerEU: 6
; AccumOffset: 8
; Occupancy: 8
; WaveLimiterHint : 0
; COMPUTE_PGM_RSRC2:SCRATCH_EN: 0
; COMPUTE_PGM_RSRC2:USER_SGPR: 2
; COMPUTE_PGM_RSRC2:TRAP_HANDLER: 0
; COMPUTE_PGM_RSRC2:TGID_X_EN: 1
; COMPUTE_PGM_RSRC2:TGID_Y_EN: 0
; COMPUTE_PGM_RSRC2:TGID_Z_EN: 0
; COMPUTE_PGM_RSRC2:TIDIG_COMP_CNT: 0
; COMPUTE_PGM_RSRC3_GFX90A:ACCUM_OFFSET: 1
; COMPUTE_PGM_RSRC3_GFX90A:TG_SPLIT: 0
	.section	.text._ZN7rocprim17ROCPRIM_304000_NS6detail20lookback_scan_kernelILNS1_25lookback_scan_determinismE0ELb0ENS1_19wrapped_scan_configINS0_14default_configEfEEPKfPfSt4plusIfEffNS1_19lookback_scan_stateIfLb1ELb1EEEEEvT2_T3_mT5_T4_T7_jPT6_SK_bb,"axG",@progbits,_ZN7rocprim17ROCPRIM_304000_NS6detail20lookback_scan_kernelILNS1_25lookback_scan_determinismE0ELb0ENS1_19wrapped_scan_configINS0_14default_configEfEEPKfPfSt4plusIfEffNS1_19lookback_scan_stateIfLb1ELb1EEEEEvT2_T3_mT5_T4_T7_jPT6_SK_bb,comdat
	.protected	_ZN7rocprim17ROCPRIM_304000_NS6detail20lookback_scan_kernelILNS1_25lookback_scan_determinismE0ELb0ENS1_19wrapped_scan_configINS0_14default_configEfEEPKfPfSt4plusIfEffNS1_19lookback_scan_stateIfLb1ELb1EEEEEvT2_T3_mT5_T4_T7_jPT6_SK_bb ; -- Begin function _ZN7rocprim17ROCPRIM_304000_NS6detail20lookback_scan_kernelILNS1_25lookback_scan_determinismE0ELb0ENS1_19wrapped_scan_configINS0_14default_configEfEEPKfPfSt4plusIfEffNS1_19lookback_scan_stateIfLb1ELb1EEEEEvT2_T3_mT5_T4_T7_jPT6_SK_bb
	.globl	_ZN7rocprim17ROCPRIM_304000_NS6detail20lookback_scan_kernelILNS1_25lookback_scan_determinismE0ELb0ENS1_19wrapped_scan_configINS0_14default_configEfEEPKfPfSt4plusIfEffNS1_19lookback_scan_stateIfLb1ELb1EEEEEvT2_T3_mT5_T4_T7_jPT6_SK_bb
	.p2align	8
	.type	_ZN7rocprim17ROCPRIM_304000_NS6detail20lookback_scan_kernelILNS1_25lookback_scan_determinismE0ELb0ENS1_19wrapped_scan_configINS0_14default_configEfEEPKfPfSt4plusIfEffNS1_19lookback_scan_stateIfLb1ELb1EEEEEvT2_T3_mT5_T4_T7_jPT6_SK_bb,@function
_ZN7rocprim17ROCPRIM_304000_NS6detail20lookback_scan_kernelILNS1_25lookback_scan_determinismE0ELb0ENS1_19wrapped_scan_configINS0_14default_configEfEEPKfPfSt4plusIfEffNS1_19lookback_scan_stateIfLb1ELb1EEEEEvT2_T3_mT5_T4_T7_jPT6_SK_bb: ; @_ZN7rocprim17ROCPRIM_304000_NS6detail20lookback_scan_kernelILNS1_25lookback_scan_determinismE0ELb0ENS1_19wrapped_scan_configINS0_14default_configEfEEPKfPfSt4plusIfEffNS1_19lookback_scan_stateIfLb1ELb1EEEEEvT2_T3_mT5_T4_T7_jPT6_SK_bb
; %bb.0:
	s_endpgm
	.section	.rodata,"a",@progbits
	.p2align	6, 0x0
	.amdhsa_kernel _ZN7rocprim17ROCPRIM_304000_NS6detail20lookback_scan_kernelILNS1_25lookback_scan_determinismE0ELb0ENS1_19wrapped_scan_configINS0_14default_configEfEEPKfPfSt4plusIfEffNS1_19lookback_scan_stateIfLb1ELb1EEEEEvT2_T3_mT5_T4_T7_jPT6_SK_bb
		.amdhsa_group_segment_fixed_size 0
		.amdhsa_private_segment_fixed_size 0
		.amdhsa_kernarg_size 68
		.amdhsa_user_sgpr_count 2
		.amdhsa_user_sgpr_dispatch_ptr 0
		.amdhsa_user_sgpr_queue_ptr 0
		.amdhsa_user_sgpr_kernarg_segment_ptr 1
		.amdhsa_user_sgpr_dispatch_id 0
		.amdhsa_user_sgpr_kernarg_preload_length 0
		.amdhsa_user_sgpr_kernarg_preload_offset 0
		.amdhsa_user_sgpr_private_segment_size 0
		.amdhsa_uses_dynamic_stack 0
		.amdhsa_enable_private_segment 0
		.amdhsa_system_sgpr_workgroup_id_x 1
		.amdhsa_system_sgpr_workgroup_id_y 0
		.amdhsa_system_sgpr_workgroup_id_z 0
		.amdhsa_system_sgpr_workgroup_info 0
		.amdhsa_system_vgpr_workitem_id 0
		.amdhsa_next_free_vgpr 1
		.amdhsa_next_free_sgpr 0
		.amdhsa_accum_offset 4
		.amdhsa_reserve_vcc 0
		.amdhsa_float_round_mode_32 0
		.amdhsa_float_round_mode_16_64 0
		.amdhsa_float_denorm_mode_32 3
		.amdhsa_float_denorm_mode_16_64 3
		.amdhsa_dx10_clamp 1
		.amdhsa_ieee_mode 1
		.amdhsa_fp16_overflow 0
		.amdhsa_tg_split 0
		.amdhsa_exception_fp_ieee_invalid_op 0
		.amdhsa_exception_fp_denorm_src 0
		.amdhsa_exception_fp_ieee_div_zero 0
		.amdhsa_exception_fp_ieee_overflow 0
		.amdhsa_exception_fp_ieee_underflow 0
		.amdhsa_exception_fp_ieee_inexact 0
		.amdhsa_exception_int_div_zero 0
	.end_amdhsa_kernel
	.section	.text._ZN7rocprim17ROCPRIM_304000_NS6detail20lookback_scan_kernelILNS1_25lookback_scan_determinismE0ELb0ENS1_19wrapped_scan_configINS0_14default_configEfEEPKfPfSt4plusIfEffNS1_19lookback_scan_stateIfLb1ELb1EEEEEvT2_T3_mT5_T4_T7_jPT6_SK_bb,"axG",@progbits,_ZN7rocprim17ROCPRIM_304000_NS6detail20lookback_scan_kernelILNS1_25lookback_scan_determinismE0ELb0ENS1_19wrapped_scan_configINS0_14default_configEfEEPKfPfSt4plusIfEffNS1_19lookback_scan_stateIfLb1ELb1EEEEEvT2_T3_mT5_T4_T7_jPT6_SK_bb,comdat
.Lfunc_end70:
	.size	_ZN7rocprim17ROCPRIM_304000_NS6detail20lookback_scan_kernelILNS1_25lookback_scan_determinismE0ELb0ENS1_19wrapped_scan_configINS0_14default_configEfEEPKfPfSt4plusIfEffNS1_19lookback_scan_stateIfLb1ELb1EEEEEvT2_T3_mT5_T4_T7_jPT6_SK_bb, .Lfunc_end70-_ZN7rocprim17ROCPRIM_304000_NS6detail20lookback_scan_kernelILNS1_25lookback_scan_determinismE0ELb0ENS1_19wrapped_scan_configINS0_14default_configEfEEPKfPfSt4plusIfEffNS1_19lookback_scan_stateIfLb1ELb1EEEEEvT2_T3_mT5_T4_T7_jPT6_SK_bb
                                        ; -- End function
	.section	.AMDGPU.csdata,"",@progbits
; Kernel info:
; codeLenInByte = 4
; NumSgprs: 6
; NumVgprs: 0
; NumAgprs: 0
; TotalNumVgprs: 0
; ScratchSize: 0
; MemoryBound: 0
; FloatMode: 240
; IeeeMode: 1
; LDSByteSize: 0 bytes/workgroup (compile time only)
; SGPRBlocks: 0
; VGPRBlocks: 0
; NumSGPRsForWavesPerEU: 6
; NumVGPRsForWavesPerEU: 1
; AccumOffset: 4
; Occupancy: 8
; WaveLimiterHint : 0
; COMPUTE_PGM_RSRC2:SCRATCH_EN: 0
; COMPUTE_PGM_RSRC2:USER_SGPR: 2
; COMPUTE_PGM_RSRC2:TRAP_HANDLER: 0
; COMPUTE_PGM_RSRC2:TGID_X_EN: 1
; COMPUTE_PGM_RSRC2:TGID_Y_EN: 0
; COMPUTE_PGM_RSRC2:TGID_Z_EN: 0
; COMPUTE_PGM_RSRC2:TIDIG_COMP_CNT: 0
; COMPUTE_PGM_RSRC3_GFX90A:ACCUM_OFFSET: 0
; COMPUTE_PGM_RSRC3_GFX90A:TG_SPLIT: 0
	.section	.text._ZN7rocprim17ROCPRIM_304000_NS6detail20lookback_scan_kernelILNS1_25lookback_scan_determinismE0ELb0ENS1_19wrapped_scan_configINS0_14default_configEfEEPKfPfSt4plusIfEffNS1_19lookback_scan_stateIfLb0ELb1EEEEEvT2_T3_mT5_T4_T7_jPT6_SK_bb,"axG",@progbits,_ZN7rocprim17ROCPRIM_304000_NS6detail20lookback_scan_kernelILNS1_25lookback_scan_determinismE0ELb0ENS1_19wrapped_scan_configINS0_14default_configEfEEPKfPfSt4plusIfEffNS1_19lookback_scan_stateIfLb0ELb1EEEEEvT2_T3_mT5_T4_T7_jPT6_SK_bb,comdat
	.protected	_ZN7rocprim17ROCPRIM_304000_NS6detail20lookback_scan_kernelILNS1_25lookback_scan_determinismE0ELb0ENS1_19wrapped_scan_configINS0_14default_configEfEEPKfPfSt4plusIfEffNS1_19lookback_scan_stateIfLb0ELb1EEEEEvT2_T3_mT5_T4_T7_jPT6_SK_bb ; -- Begin function _ZN7rocprim17ROCPRIM_304000_NS6detail20lookback_scan_kernelILNS1_25lookback_scan_determinismE0ELb0ENS1_19wrapped_scan_configINS0_14default_configEfEEPKfPfSt4plusIfEffNS1_19lookback_scan_stateIfLb0ELb1EEEEEvT2_T3_mT5_T4_T7_jPT6_SK_bb
	.globl	_ZN7rocprim17ROCPRIM_304000_NS6detail20lookback_scan_kernelILNS1_25lookback_scan_determinismE0ELb0ENS1_19wrapped_scan_configINS0_14default_configEfEEPKfPfSt4plusIfEffNS1_19lookback_scan_stateIfLb0ELb1EEEEEvT2_T3_mT5_T4_T7_jPT6_SK_bb
	.p2align	8
	.type	_ZN7rocprim17ROCPRIM_304000_NS6detail20lookback_scan_kernelILNS1_25lookback_scan_determinismE0ELb0ENS1_19wrapped_scan_configINS0_14default_configEfEEPKfPfSt4plusIfEffNS1_19lookback_scan_stateIfLb0ELb1EEEEEvT2_T3_mT5_T4_T7_jPT6_SK_bb,@function
_ZN7rocprim17ROCPRIM_304000_NS6detail20lookback_scan_kernelILNS1_25lookback_scan_determinismE0ELb0ENS1_19wrapped_scan_configINS0_14default_configEfEEPKfPfSt4plusIfEffNS1_19lookback_scan_stateIfLb0ELb1EEEEEvT2_T3_mT5_T4_T7_jPT6_SK_bb: ; @_ZN7rocprim17ROCPRIM_304000_NS6detail20lookback_scan_kernelILNS1_25lookback_scan_determinismE0ELb0ENS1_19wrapped_scan_configINS0_14default_configEfEEPKfPfSt4plusIfEffNS1_19lookback_scan_stateIfLb0ELb1EEEEEvT2_T3_mT5_T4_T7_jPT6_SK_bb
; %bb.0:
	s_load_dword s3, s[0:1], 0x28
	s_load_dwordx4 s[8:11], s[0:1], 0x0
	s_load_dwordx2 s[4:5], s[0:1], 0x10
	s_mul_i32 s6, s2, 0x1800
	s_mov_b32 s7, 0
	s_waitcnt lgkmcnt(0)
	s_add_i32 s3, s3, -1
	s_mul_i32 s12, s3, 0x1800
	s_sub_u32 s22, s4, s12
	s_subb_u32 s23, s5, 0
	s_cmp_lg_u32 s2, s3
	s_cselect_b64 s[12:13], -1, 0
	s_lshl_b64 s[14:15], s[6:7], 2
	s_add_u32 s6, s8, s14
	s_addc_u32 s7, s9, s15
	s_mov_b64 s[4:5], -1
	s_and_b64 vcc, exec, s[12:13]
	v_lshlrev_b32_e32 v30, 2, v0
	s_cbranch_vccz .LBB71_2
; %bb.1:
	v_mov_b32_e32 v31, 0
	v_lshl_add_u64 v[2:3], s[6:7], 0, v[30:31]
	v_add_co_u32_e32 v4, vcc, 0x1000, v2
	global_load_dword v1, v30, s[6:7]
	global_load_dword v8, v30, s[6:7] offset:1024
	global_load_dword v9, v30, s[6:7] offset:2048
	;; [unrolled: 1-line block ×3, first 2 shown]
	v_addc_co_u32_e32 v5, vcc, 0, v3, vcc
	v_add_co_u32_e32 v6, vcc, 0x2000, v2
	s_mov_b64 s[4:5], 0
	s_nop 0
	v_addc_co_u32_e32 v7, vcc, 0, v3, vcc
	global_load_dword v11, v[4:5], off
	global_load_dword v12, v[4:5], off offset:1024
	global_load_dword v13, v[4:5], off offset:2048
	;; [unrolled: 1-line block ×3, first 2 shown]
	global_load_dword v15, v[6:7], off
	global_load_dword v16, v[6:7], off offset:1024
	global_load_dword v17, v[6:7], off offset:2048
	;; [unrolled: 1-line block ×3, first 2 shown]
	v_add_co_u32_e32 v4, vcc, 0x3000, v2
	s_nop 1
	v_addc_co_u32_e32 v5, vcc, 0, v3, vcc
	v_add_co_u32_e32 v6, vcc, 0x4000, v2
	s_nop 1
	v_addc_co_u32_e32 v7, vcc, 0, v3, vcc
	v_add_co_u32_e32 v2, vcc, 0x5000, v2
	global_load_dword v19, v[4:5], off
	global_load_dword v20, v[4:5], off offset:1024
	global_load_dword v21, v[4:5], off offset:2048
	global_load_dword v22, v[4:5], off offset:3072
	global_load_dword v23, v[6:7], off
	global_load_dword v24, v[6:7], off offset:1024
	global_load_dword v25, v[6:7], off offset:2048
	;; [unrolled: 1-line block ×3, first 2 shown]
	v_addc_co_u32_e32 v3, vcc, 0, v3, vcc
	global_load_dword v4, v[2:3], off
	global_load_dword v5, v[2:3], off offset:1024
	global_load_dword v6, v[2:3], off offset:2048
	;; [unrolled: 1-line block ×3, first 2 shown]
	s_waitcnt vmcnt(22)
	ds_write2st64_b32 v30, v1, v8 offset1:4
	s_waitcnt vmcnt(20)
	ds_write2st64_b32 v30, v9, v10 offset0:8 offset1:12
	s_waitcnt vmcnt(18)
	ds_write2st64_b32 v30, v11, v12 offset0:16 offset1:20
	;; [unrolled: 2-line block ×11, first 2 shown]
	s_waitcnt lgkmcnt(0)
	s_barrier
.LBB71_2:
	s_andn2_b64 vcc, exec, s[4:5]
	v_cmp_gt_u32_e64 s[4:5], s22, v0
	s_cbranch_vccnz .LBB71_52
; %bb.3:
	s_load_dword s3, s[6:7], 0x0
	v_mov_b32_e32 v31, 0
	v_lshl_add_u64 v[2:3], s[6:7], 0, v[30:31]
	s_waitcnt lgkmcnt(0)
	v_mov_b32_e32 v1, s3
	s_and_saveexec_b64 s[6:7], s[4:5]
	s_cbranch_execz .LBB71_5
; %bb.4:
	global_load_dword v1, v[2:3], off
.LBB71_5:
	s_or_b64 exec, exec, s[6:7]
	v_or_b32_e32 v4, 0x100, v0
	v_cmp_gt_u32_e32 vcc, s22, v4
	v_mov_b32_e32 v4, s3
	s_and_saveexec_b64 s[4:5], vcc
	s_cbranch_execz .LBB71_7
; %bb.6:
	global_load_dword v4, v[2:3], off offset:1024
.LBB71_7:
	s_or_b64 exec, exec, s[4:5]
	v_or_b32_e32 v5, 0x200, v0
	v_cmp_gt_u32_e32 vcc, s22, v5
	v_mov_b32_e32 v5, s3
	s_and_saveexec_b64 s[4:5], vcc
	s_cbranch_execz .LBB71_9
; %bb.8:
	global_load_dword v5, v[2:3], off offset:2048
.LBB71_9:
	;; [unrolled: 9-line block ×3, first 2 shown]
	s_or_b64 exec, exec, s[4:5]
	v_or_b32_e32 v7, 0x400, v0
	v_cmp_gt_u32_e32 vcc, s22, v7
	v_mov_b32_e32 v7, s3
	s_and_saveexec_b64 s[4:5], vcc
	s_cbranch_execz .LBB71_13
; %bb.12:
	v_add_co_u32_e32 v8, vcc, 0x1000, v2
	s_nop 1
	v_addc_co_u32_e32 v9, vcc, 0, v3, vcc
	global_load_dword v7, v[8:9], off
.LBB71_13:
	s_or_b64 exec, exec, s[4:5]
	v_or_b32_e32 v8, 0x500, v0
	v_cmp_gt_u32_e32 vcc, s22, v8
	v_mov_b32_e32 v8, s3
	s_and_saveexec_b64 s[4:5], vcc
	s_cbranch_execz .LBB71_15
; %bb.14:
	v_add_co_u32_e32 v8, vcc, 0x1000, v2
	s_nop 1
	v_addc_co_u32_e32 v9, vcc, 0, v3, vcc
	global_load_dword v8, v[8:9], off offset:1024
.LBB71_15:
	s_or_b64 exec, exec, s[4:5]
	v_or_b32_e32 v9, 0x600, v0
	v_cmp_gt_u32_e32 vcc, s22, v9
	v_mov_b32_e32 v9, s3
	s_and_saveexec_b64 s[4:5], vcc
	s_cbranch_execz .LBB71_17
; %bb.16:
	v_add_co_u32_e32 v10, vcc, 0x1000, v2
	s_nop 1
	v_addc_co_u32_e32 v11, vcc, 0, v3, vcc
	global_load_dword v9, v[10:11], off offset:2048
.LBB71_17:
	s_or_b64 exec, exec, s[4:5]
	v_or_b32_e32 v10, 0x700, v0
	v_cmp_gt_u32_e32 vcc, s22, v10
	v_mov_b32_e32 v10, s3
	s_and_saveexec_b64 s[4:5], vcc
	s_cbranch_execz .LBB71_19
; %bb.18:
	v_add_co_u32_e32 v10, vcc, 0x1000, v2
	s_nop 1
	v_addc_co_u32_e32 v11, vcc, 0, v3, vcc
	global_load_dword v10, v[10:11], off offset:3072
.LBB71_19:
	s_or_b64 exec, exec, s[4:5]
	v_or_b32_e32 v11, 0x800, v0
	v_cmp_gt_u32_e32 vcc, s22, v11
	v_mov_b32_e32 v11, s3
	s_and_saveexec_b64 s[4:5], vcc
	s_cbranch_execz .LBB71_21
; %bb.20:
	v_add_co_u32_e32 v12, vcc, 0x2000, v2
	s_nop 1
	v_addc_co_u32_e32 v13, vcc, 0, v3, vcc
	global_load_dword v11, v[12:13], off
.LBB71_21:
	s_or_b64 exec, exec, s[4:5]
	v_or_b32_e32 v12, 0x900, v0
	v_cmp_gt_u32_e32 vcc, s22, v12
	v_mov_b32_e32 v12, s3
	s_and_saveexec_b64 s[4:5], vcc
	s_cbranch_execz .LBB71_23
; %bb.22:
	v_add_co_u32_e32 v12, vcc, 0x2000, v2
	s_nop 1
	v_addc_co_u32_e32 v13, vcc, 0, v3, vcc
	global_load_dword v12, v[12:13], off offset:1024
.LBB71_23:
	s_or_b64 exec, exec, s[4:5]
	v_or_b32_e32 v13, 0xa00, v0
	v_cmp_gt_u32_e32 vcc, s22, v13
	v_mov_b32_e32 v13, s3
	s_and_saveexec_b64 s[4:5], vcc
	s_cbranch_execz .LBB71_25
; %bb.24:
	v_add_co_u32_e32 v14, vcc, 0x2000, v2
	s_nop 1
	v_addc_co_u32_e32 v15, vcc, 0, v3, vcc
	global_load_dword v13, v[14:15], off offset:2048
.LBB71_25:
	s_or_b64 exec, exec, s[4:5]
	v_or_b32_e32 v14, 0xb00, v0
	v_cmp_gt_u32_e32 vcc, s22, v14
	v_mov_b32_e32 v14, s3
	s_and_saveexec_b64 s[4:5], vcc
	s_cbranch_execz .LBB71_27
; %bb.26:
	v_add_co_u32_e32 v14, vcc, 0x2000, v2
	s_nop 1
	v_addc_co_u32_e32 v15, vcc, 0, v3, vcc
	global_load_dword v14, v[14:15], off offset:3072
.LBB71_27:
	s_or_b64 exec, exec, s[4:5]
	v_or_b32_e32 v15, 0xc00, v0
	v_cmp_gt_u32_e32 vcc, s22, v15
	v_mov_b32_e32 v15, s3
	s_and_saveexec_b64 s[4:5], vcc
	s_cbranch_execz .LBB71_29
; %bb.28:
	v_add_co_u32_e32 v16, vcc, 0x3000, v2
	s_nop 1
	v_addc_co_u32_e32 v17, vcc, 0, v3, vcc
	global_load_dword v15, v[16:17], off
.LBB71_29:
	s_or_b64 exec, exec, s[4:5]
	v_or_b32_e32 v16, 0xd00, v0
	v_cmp_gt_u32_e32 vcc, s22, v16
	v_mov_b32_e32 v16, s3
	s_and_saveexec_b64 s[4:5], vcc
	s_cbranch_execz .LBB71_31
; %bb.30:
	v_add_co_u32_e32 v16, vcc, 0x3000, v2
	s_nop 1
	v_addc_co_u32_e32 v17, vcc, 0, v3, vcc
	global_load_dword v16, v[16:17], off offset:1024
.LBB71_31:
	s_or_b64 exec, exec, s[4:5]
	v_or_b32_e32 v17, 0xe00, v0
	v_cmp_gt_u32_e32 vcc, s22, v17
	v_mov_b32_e32 v17, s3
	s_and_saveexec_b64 s[4:5], vcc
	s_cbranch_execz .LBB71_33
; %bb.32:
	v_add_co_u32_e32 v18, vcc, 0x3000, v2
	s_nop 1
	v_addc_co_u32_e32 v19, vcc, 0, v3, vcc
	global_load_dword v17, v[18:19], off offset:2048
.LBB71_33:
	s_or_b64 exec, exec, s[4:5]
	v_or_b32_e32 v18, 0xf00, v0
	v_cmp_gt_u32_e32 vcc, s22, v18
	v_mov_b32_e32 v18, s3
	s_and_saveexec_b64 s[4:5], vcc
	s_cbranch_execz .LBB71_35
; %bb.34:
	v_add_co_u32_e32 v18, vcc, 0x3000, v2
	s_nop 1
	v_addc_co_u32_e32 v19, vcc, 0, v3, vcc
	global_load_dword v18, v[18:19], off offset:3072
.LBB71_35:
	s_or_b64 exec, exec, s[4:5]
	v_or_b32_e32 v19, 0x1000, v0
	v_cmp_gt_u32_e32 vcc, s22, v19
	v_mov_b32_e32 v19, s3
	s_and_saveexec_b64 s[4:5], vcc
	s_cbranch_execz .LBB71_37
; %bb.36:
	v_add_co_u32_e32 v20, vcc, 0x4000, v2
	s_nop 1
	v_addc_co_u32_e32 v21, vcc, 0, v3, vcc
	global_load_dword v19, v[20:21], off
.LBB71_37:
	s_or_b64 exec, exec, s[4:5]
	v_or_b32_e32 v20, 0x1100, v0
	v_cmp_gt_u32_e32 vcc, s22, v20
	v_mov_b32_e32 v20, s3
	s_and_saveexec_b64 s[4:5], vcc
	s_cbranch_execz .LBB71_39
; %bb.38:
	v_add_co_u32_e32 v20, vcc, 0x4000, v2
	s_nop 1
	v_addc_co_u32_e32 v21, vcc, 0, v3, vcc
	global_load_dword v20, v[20:21], off offset:1024
.LBB71_39:
	s_or_b64 exec, exec, s[4:5]
	v_or_b32_e32 v21, 0x1200, v0
	v_cmp_gt_u32_e32 vcc, s22, v21
	v_mov_b32_e32 v21, s3
	s_and_saveexec_b64 s[4:5], vcc
	s_cbranch_execz .LBB71_41
; %bb.40:
	v_add_co_u32_e32 v22, vcc, 0x4000, v2
	s_nop 1
	v_addc_co_u32_e32 v23, vcc, 0, v3, vcc
	global_load_dword v21, v[22:23], off offset:2048
.LBB71_41:
	s_or_b64 exec, exec, s[4:5]
	v_or_b32_e32 v22, 0x1300, v0
	v_cmp_gt_u32_e32 vcc, s22, v22
	v_mov_b32_e32 v22, s3
	s_and_saveexec_b64 s[4:5], vcc
	s_cbranch_execz .LBB71_43
; %bb.42:
	v_add_co_u32_e32 v22, vcc, 0x4000, v2
	s_nop 1
	v_addc_co_u32_e32 v23, vcc, 0, v3, vcc
	global_load_dword v22, v[22:23], off offset:3072
.LBB71_43:
	s_or_b64 exec, exec, s[4:5]
	v_or_b32_e32 v23, 0x1400, v0
	v_cmp_gt_u32_e32 vcc, s22, v23
	v_mov_b32_e32 v23, s3
	s_and_saveexec_b64 s[4:5], vcc
	s_cbranch_execz .LBB71_45
; %bb.44:
	v_add_co_u32_e32 v24, vcc, 0x5000, v2
	s_nop 1
	v_addc_co_u32_e32 v25, vcc, 0, v3, vcc
	global_load_dword v23, v[24:25], off
.LBB71_45:
	s_or_b64 exec, exec, s[4:5]
	v_or_b32_e32 v24, 0x1500, v0
	v_cmp_gt_u32_e32 vcc, s22, v24
	v_mov_b32_e32 v24, s3
	s_and_saveexec_b64 s[4:5], vcc
	s_cbranch_execz .LBB71_47
; %bb.46:
	v_add_co_u32_e32 v24, vcc, 0x5000, v2
	s_nop 1
	v_addc_co_u32_e32 v25, vcc, 0, v3, vcc
	global_load_dword v24, v[24:25], off offset:1024
.LBB71_47:
	s_or_b64 exec, exec, s[4:5]
	v_or_b32_e32 v25, 0x1600, v0
	v_cmp_gt_u32_e32 vcc, s22, v25
	v_mov_b32_e32 v25, s3
	s_and_saveexec_b64 s[4:5], vcc
	s_cbranch_execz .LBB71_49
; %bb.48:
	v_add_co_u32_e32 v26, vcc, 0x5000, v2
	s_nop 1
	v_addc_co_u32_e32 v27, vcc, 0, v3, vcc
	global_load_dword v25, v[26:27], off offset:2048
.LBB71_49:
	s_or_b64 exec, exec, s[4:5]
	v_or_b32_e32 v26, 0x1700, v0
	v_cmp_gt_u32_e32 vcc, s22, v26
	v_mov_b32_e32 v26, s3
	s_and_saveexec_b64 s[4:5], vcc
	s_cbranch_execz .LBB71_51
; %bb.50:
	v_add_co_u32_e32 v2, vcc, 0x5000, v2
	s_nop 1
	v_addc_co_u32_e32 v3, vcc, 0, v3, vcc
	global_load_dword v26, v[2:3], off offset:3072
.LBB71_51:
	s_or_b64 exec, exec, s[4:5]
	s_waitcnt vmcnt(0)
	ds_write2st64_b32 v30, v1, v4 offset1:4
	ds_write2st64_b32 v30, v5, v6 offset0:8 offset1:12
	ds_write2st64_b32 v30, v7, v8 offset0:16 offset1:20
	;; [unrolled: 1-line block ×11, first 2 shown]
	s_waitcnt lgkmcnt(0)
	s_barrier
.LBB71_52:
	v_mul_u32_u24_e32 v38, 24, v0
	v_lshlrev_b32_e32 v1, 2, v38
	ds_read_b128 v[22:25], v1
	ds_read_b128 v[18:21], v1 offset:16
	ds_read_b128 v[14:17], v1 offset:32
	;; [unrolled: 1-line block ×5, first 2 shown]
	s_load_dwordx2 s[8:9], s[0:1], 0x20
	s_cmp_lg_u32 s2, 0
	v_lshrrev_b32_e32 v31, 5, v0
	v_cmp_gt_u32_e32 vcc, 64, v0
	s_waitcnt lgkmcnt(0)
	s_barrier
	s_cbranch_scc0 .LBB71_77
; %bb.53:
	v_add_f32_e32 v26, v22, v23
	v_add_f32_e32 v26, v26, v24
	;; [unrolled: 1-line block ×23, first 2 shown]
	v_add_lshl_u32 v26, v31, v0, 2
	ds_write_b32 v26, v39
	s_waitcnt lgkmcnt(0)
	s_barrier
	s_and_saveexec_b64 s[6:7], vcc
	s_cbranch_execz .LBB71_55
; %bb.54:
	v_lshrrev_b32_e32 v26, 3, v0
	v_add_lshl_u32 v32, v26, v30, 2
	ds_read2_b32 v[26:27], v32 offset1:1
	ds_read2_b32 v[28:29], v32 offset0:2 offset1:3
	v_mbcnt_lo_u32_b32 v33, -1, 0
	v_mbcnt_hi_u32_b32 v33, -1, v33
	v_and_b32_e32 v34, 15, v33
	s_waitcnt lgkmcnt(1)
	v_add_f32_e32 v35, v26, v27
	s_waitcnt lgkmcnt(0)
	v_add_f32_e32 v35, v35, v28
	v_add_f32_e32 v35, v35, v29
	v_cmp_eq_u32_e64 s[4:5], 0, v34
	s_nop 0
	v_mov_b32_dpp v36, v35 row_shr:1 row_mask:0xf bank_mask:0xf
	v_add_f32_e32 v36, v35, v36
	v_cndmask_b32_e64 v35, v36, v35, s[4:5]
	v_cmp_lt_u32_e64 s[4:5], 1, v34
	s_nop 0
	v_mov_b32_dpp v36, v35 row_shr:2 row_mask:0xf bank_mask:0xf
	v_add_f32_e32 v36, v35, v36
	v_cndmask_b32_e64 v35, v35, v36, s[4:5]
	v_cmp_lt_u32_e64 s[4:5], 3, v34
	;; [unrolled: 5-line block ×3, first 2 shown]
	s_nop 0
	v_mov_b32_dpp v36, v35 row_shr:8 row_mask:0xf bank_mask:0xf
	v_add_f32_e32 v36, v35, v36
	v_cndmask_b32_e64 v34, v35, v36, s[4:5]
	v_and_b32_e32 v36, 16, v33
	v_cmp_eq_u32_e64 s[4:5], 0, v36
	v_mov_b32_dpp v35, v34 row_bcast:15 row_mask:0xf bank_mask:0xf
	v_add_f32_e32 v35, v34, v35
	v_cndmask_b32_e64 v34, v35, v34, s[4:5]
	v_cmp_lt_u32_e64 s[4:5], 31, v33
	v_and_b32_e32 v36, 64, v33
	v_mov_b32_dpp v35, v34 row_bcast:31 row_mask:0xf bank_mask:0xf
	v_add_f32_e32 v35, v34, v35
	v_cndmask_b32_e64 v34, v34, v35, s[4:5]
	v_add_u32_e32 v35, -1, v33
	v_cmp_lt_i32_e64 s[4:5], v35, v36
	s_nop 1
	v_cndmask_b32_e64 v33, v35, v33, s[4:5]
	v_lshlrev_b32_e32 v33, 2, v33
	ds_bpermute_b32 v33, v33, v34
	v_cmp_eq_u32_e64 s[4:5], 0, v0
	s_waitcnt lgkmcnt(0)
	v_add_f32_e32 v26, v26, v33
	v_cndmask_b32_e64 v26, v26, v39, s[4:5]
	v_add_f32_e32 v27, v27, v26
	ds_write2_b32 v32, v26, v27 offset1:1
	v_add_f32_e32 v26, v28, v27
	v_add_f32_e32 v27, v29, v26
	ds_write2_b32 v32, v26, v27 offset0:2 offset1:3
.LBB71_55:
	s_or_b64 exec, exec, s[6:7]
	v_cmp_eq_u32_e64 s[6:7], 0, v0
	v_cmp_ne_u32_e64 s[4:5], 0, v0
	s_waitcnt lgkmcnt(0)
	s_barrier
	s_and_saveexec_b64 s[16:17], s[4:5]
	s_cbranch_execz .LBB71_57
; %bb.56:
	v_add_u32_e32 v26, -1, v0
	v_lshrrev_b32_e32 v27, 5, v26
	v_add_lshl_u32 v26, v27, v26, 2
	ds_read_b32 v39, v26
.LBB71_57:
	s_or_b64 exec, exec, s[16:17]
	s_and_saveexec_b64 s[16:17], vcc
	s_cbranch_execz .LBB71_76
; %bb.58:
	v_mov_b32_e32 v35, 0
	ds_read_b32 v26, v35 offset:1048
	v_mbcnt_lo_u32_b32 v27, -1, 0
	v_mbcnt_hi_u32_b32 v29, -1, v27
	s_mov_b32 s21, 0
	v_cmp_eq_u32_e64 s[4:5], 0, v29
	s_and_saveexec_b64 s[18:19], s[4:5]
	s_cbranch_execz .LBB71_60
; %bb.59:
	s_add_i32 s20, s2, 64
	s_lshl_b64 s[20:21], s[20:21], 3
	s_add_u32 s20, s8, s20
	s_addc_u32 s21, s9, s21
	v_mov_b32_e32 v27, 1
	s_waitcnt lgkmcnt(0)
	global_store_dwordx2 v35, v[26:27], s[20:21] sc1
.LBB71_60:
	s_or_b64 exec, exec, s[18:19]
	v_xad_u32 v28, v29, -1, s2
	v_add_u32_e32 v34, 64, v28
	v_lshl_add_u64 v[36:37], v[34:35], 3, s[8:9]
	global_load_dwordx2 v[32:33], v[36:37], off sc1
	s_waitcnt vmcnt(0)
	v_cmp_eq_u16_sdwa s[20:21], v33, v35 src0_sel:BYTE_0 src1_sel:DWORD
	s_and_saveexec_b64 s[18:19], s[20:21]
	s_cbranch_execz .LBB71_64
; %bb.61:
	s_mov_b64 s[20:21], 0
	v_mov_b32_e32 v27, 0
.LBB71_62:                              ; =>This Inner Loop Header: Depth=1
	global_load_dwordx2 v[32:33], v[36:37], off sc1
	s_waitcnt vmcnt(0)
	v_cmp_ne_u16_sdwa s[24:25], v33, v27 src0_sel:BYTE_0 src1_sel:DWORD
	s_or_b64 s[20:21], s[24:25], s[20:21]
	s_andn2_b64 exec, exec, s[20:21]
	s_cbranch_execnz .LBB71_62
; %bb.63:
	s_or_b64 exec, exec, s[20:21]
.LBB71_64:
	s_or_b64 exec, exec, s[18:19]
	v_and_b32_e32 v49, 63, v29
	v_cmp_ne_u32_e32 vcc, 63, v49
	v_mov_b32_e32 v27, 2
	v_cmp_eq_u16_sdwa s[18:19], v33, v27 src0_sel:BYTE_0 src1_sel:DWORD
	v_addc_co_u32_e32 v40, vcc, 0, v29, vcc
	v_lshlrev_b64 v[34:35], v29, -1
	v_lshlrev_b32_e32 v40, 2, v40
	v_and_b32_e32 v36, s19, v35
	ds_bpermute_b32 v42, v40, v32
	v_or_b32_e32 v36, 0x80000000, v36
	v_and_b32_e32 v37, s18, v34
	v_ffbl_b32_e32 v36, v36
	v_add_u32_e32 v36, 32, v36
	v_ffbl_b32_e32 v37, v37
	v_min_u32_e32 v36, v37, v36
	v_add_u32_e32 v41, 1, v29
	s_waitcnt lgkmcnt(0)
	v_add_f32_e32 v37, v32, v42
	v_cmp_gt_u32_e32 vcc, v41, v36
	v_add_u32_e32 v43, 2, v29
	v_add_u32_e32 v45, 4, v29
	v_cndmask_b32_e32 v32, v37, v32, vcc
	v_cmp_gt_u32_e32 vcc, 62, v49
	v_add_u32_e32 v47, 8, v29
	v_add_u32_e32 v50, 16, v29
	v_cndmask_b32_e64 v37, 0, 1, vcc
	v_lshlrev_b32_e32 v37, 1, v37
	v_add_lshl_u32 v42, v37, v29, 2
	ds_bpermute_b32 v37, v42, v32
	v_cmp_gt_u32_e32 vcc, v43, v36
	v_add_u32_e32 v52, 32, v29
	s_waitcnt lgkmcnt(0)
	v_add_f32_e32 v37, v32, v37
	v_cndmask_b32_e32 v32, v37, v32, vcc
	v_cmp_gt_u32_e32 vcc, 60, v49
	s_nop 1
	v_cndmask_b32_e64 v37, 0, 1, vcc
	v_lshlrev_b32_e32 v37, 2, v37
	v_add_lshl_u32 v44, v37, v29, 2
	ds_bpermute_b32 v37, v44, v32
	v_cmp_gt_u32_e32 vcc, v45, v36
	s_waitcnt lgkmcnt(0)
	v_add_f32_e32 v37, v32, v37
	v_cndmask_b32_e32 v32, v37, v32, vcc
	v_cmp_gt_u32_e32 vcc, 56, v49
	s_nop 1
	v_cndmask_b32_e64 v37, 0, 1, vcc
	v_lshlrev_b32_e32 v37, 3, v37
	v_add_lshl_u32 v46, v37, v29, 2
	ds_bpermute_b32 v37, v46, v32
	v_cmp_gt_u32_e32 vcc, v47, v36
	;; [unrolled: 10-line block ×4, first 2 shown]
	s_waitcnt lgkmcnt(0)
	v_add_f32_e32 v29, v32, v37
	v_cndmask_b32_e32 v32, v29, v32, vcc
	v_mov_b32_e32 v29, 0
	s_branch .LBB71_66
.LBB71_65:                              ;   in Loop: Header=BB71_66 Depth=1
	s_or_b64 exec, exec, s[18:19]
	v_cmp_eq_u16_sdwa s[18:19], v33, v27 src0_sel:BYTE_0 src1_sel:DWORD
	ds_bpermute_b32 v53, v40, v32
	v_subrev_u32_e32 v28, 64, v28
	v_and_b32_e32 v36, s19, v35
	v_or_b32_e32 v36, 0x80000000, v36
	v_and_b32_e32 v37, s18, v34
	v_ffbl_b32_e32 v36, v36
	v_add_u32_e32 v36, 32, v36
	v_ffbl_b32_e32 v37, v37
	v_min_u32_e32 v36, v37, v36
	s_waitcnt lgkmcnt(0)
	v_add_f32_e32 v37, v32, v53
	v_cmp_gt_u32_e32 vcc, v41, v36
	s_nop 1
	v_cndmask_b32_e32 v32, v37, v32, vcc
	ds_bpermute_b32 v37, v42, v32
	v_cmp_gt_u32_e32 vcc, v43, v36
	s_waitcnt lgkmcnt(0)
	v_add_f32_e32 v37, v32, v37
	v_cndmask_b32_e32 v32, v37, v32, vcc
	ds_bpermute_b32 v37, v44, v32
	v_cmp_gt_u32_e32 vcc, v45, v36
	s_waitcnt lgkmcnt(0)
	v_add_f32_e32 v37, v32, v37
	v_cndmask_b32_e32 v32, v37, v32, vcc
	ds_bpermute_b32 v37, v46, v32
	v_cmp_gt_u32_e32 vcc, v47, v36
	s_waitcnt lgkmcnt(0)
	v_add_f32_e32 v37, v32, v37
	v_cndmask_b32_e32 v32, v37, v32, vcc
	ds_bpermute_b32 v37, v48, v32
	v_cmp_gt_u32_e32 vcc, v50, v36
	s_waitcnt lgkmcnt(0)
	v_add_f32_e32 v37, v32, v37
	v_cndmask_b32_e32 v32, v37, v32, vcc
	ds_bpermute_b32 v37, v51, v32
	v_cmp_gt_u32_e32 vcc, v52, v36
	s_waitcnt lgkmcnt(0)
	v_add_f32_e32 v37, v32, v37
	v_cndmask_b32_e32 v32, v37, v32, vcc
	v_add_f32_e32 v32, v49, v32
.LBB71_66:                              ; =>This Loop Header: Depth=1
                                        ;     Child Loop BB71_69 Depth 2
	v_cmp_ne_u16_sdwa s[18:19], v33, v27 src0_sel:BYTE_0 src1_sel:DWORD
	v_mov_b32_e32 v49, v32
	s_nop 0
	v_cndmask_b32_e64 v33, 0, 1, s[18:19]
	;;#ASMSTART
	;;#ASMEND
	s_nop 0
	v_cmp_ne_u32_e32 vcc, 0, v33
	s_cmp_lg_u64 vcc, exec
	s_cbranch_scc1 .LBB71_71
; %bb.67:                               ;   in Loop: Header=BB71_66 Depth=1
	v_lshl_add_u64 v[36:37], v[28:29], 3, s[8:9]
	global_load_dwordx2 v[32:33], v[36:37], off sc1
	s_waitcnt vmcnt(0)
	v_cmp_eq_u16_sdwa s[20:21], v33, v29 src0_sel:BYTE_0 src1_sel:DWORD
	s_and_saveexec_b64 s[18:19], s[20:21]
	s_cbranch_execz .LBB71_65
; %bb.68:                               ;   in Loop: Header=BB71_66 Depth=1
	s_mov_b64 s[20:21], 0
.LBB71_69:                              ;   Parent Loop BB71_66 Depth=1
                                        ; =>  This Inner Loop Header: Depth=2
	global_load_dwordx2 v[32:33], v[36:37], off sc1
	s_waitcnt vmcnt(0)
	v_cmp_ne_u16_sdwa s[24:25], v33, v29 src0_sel:BYTE_0 src1_sel:DWORD
	s_or_b64 s[20:21], s[24:25], s[20:21]
	s_andn2_b64 exec, exec, s[20:21]
	s_cbranch_execnz .LBB71_69
; %bb.70:                               ;   in Loop: Header=BB71_66 Depth=1
	s_or_b64 exec, exec, s[20:21]
	s_branch .LBB71_65
.LBB71_71:                              ;   in Loop: Header=BB71_66 Depth=1
                                        ; implicit-def: $vgpr32
                                        ; implicit-def: $vgpr33
	s_cbranch_execz .LBB71_66
; %bb.72:
	s_and_saveexec_b64 s[18:19], s[4:5]
	s_cbranch_execz .LBB71_74
; %bb.73:
	s_add_i32 s2, s2, 64
	s_mov_b32 s3, 0
	s_lshl_b64 s[2:3], s[2:3], 3
	s_add_u32 s2, s8, s2
	s_addc_u32 s3, s9, s3
	v_mov_b32_e32 v28, 0
	v_add_f32_e32 v26, v26, v49
	v_mov_b32_e32 v27, 2
	global_store_dwordx2 v28, v[26:27], s[2:3] sc1
.LBB71_74:
	s_or_b64 exec, exec, s[18:19]
	s_and_b64 exec, exec, s[6:7]
	s_cbranch_execz .LBB71_76
; %bb.75:
	v_mov_b32_e32 v26, 0
	ds_write_b32 v26, v49
.LBB71_76:
	s_or_b64 exec, exec, s[16:17]
	v_mov_b32_e32 v26, 0
	s_waitcnt lgkmcnt(0)
	s_barrier
	ds_read_b32 v26, v26
	v_add_f32_e32 v27, v22, v39
	v_cndmask_b32_e64 v27, v27, v22, s[6:7]
	s_waitcnt lgkmcnt(0)
	v_add_f32_e32 v26, v27, v26
	s_load_dwordx4 s[4:7], s[0:1], 0x30
	s_branch .LBB71_87
.LBB71_77:
                                        ; implicit-def: $vgpr26
	s_load_dwordx4 s[4:7], s[0:1], 0x30
	s_cbranch_execz .LBB71_87
; %bb.78:
	s_load_dword s16, s[0:1], 0x40
	v_cmp_eq_u32_e32 vcc, 0, v0
	v_cmp_ne_u32_e64 s[2:3], 0, v0
	s_waitcnt lgkmcnt(0)
	s_bitcmp1_b32 s16, 0
	s_cselect_b64 s[16:17], -1, 0
	s_and_b64 s[18:19], vcc, s[16:17]
	s_and_saveexec_b64 s[16:17], s[18:19]
	s_cbranch_execz .LBB71_80
; %bb.79:
	s_load_dword s4, s[4:5], 0x0
	s_waitcnt lgkmcnt(0)
	v_add_f32_e32 v22, s4, v22
.LBB71_80:
	s_or_b64 exec, exec, s[16:17]
	v_add_f32_e32 v26, v23, v22
	v_add_f32_e32 v26, v24, v26
	;; [unrolled: 1-line block ×23, first 2 shown]
	v_add_lshl_u32 v27, v31, v0, 2
	v_cmp_gt_u32_e64 s[4:5], 64, v0
	ds_write_b32 v27, v26
	s_waitcnt lgkmcnt(0)
	s_barrier
	s_and_saveexec_b64 s[16:17], s[4:5]
	s_cbranch_execz .LBB71_82
; %bb.81:
	v_lshrrev_b32_e32 v27, 3, v0
	v_add_lshl_u32 v27, v27, v30, 2
	ds_read2_b32 v[28:29], v27 offset1:1
	ds_read2_b32 v[32:33], v27 offset0:2 offset1:3
	v_mbcnt_lo_u32_b32 v31, -1, 0
	v_mbcnt_hi_u32_b32 v31, -1, v31
	v_and_b32_e32 v34, 15, v31
	s_waitcnt lgkmcnt(1)
	v_add_f32_e32 v35, v28, v29
	s_waitcnt lgkmcnt(0)
	v_add_f32_e32 v35, v35, v32
	v_add_f32_e32 v35, v35, v33
	v_cmp_eq_u32_e64 s[4:5], 0, v34
	s_nop 0
	v_mov_b32_dpp v36, v35 row_shr:1 row_mask:0xf bank_mask:0xf
	v_add_f32_e32 v36, v35, v36
	v_cndmask_b32_e64 v35, v36, v35, s[4:5]
	v_cmp_lt_u32_e64 s[4:5], 1, v34
	s_nop 0
	v_mov_b32_dpp v36, v35 row_shr:2 row_mask:0xf bank_mask:0xf
	v_add_f32_e32 v36, v35, v36
	v_cndmask_b32_e64 v35, v35, v36, s[4:5]
	v_cmp_lt_u32_e64 s[4:5], 3, v34
	;; [unrolled: 5-line block ×3, first 2 shown]
	s_nop 0
	v_mov_b32_dpp v36, v35 row_shr:8 row_mask:0xf bank_mask:0xf
	v_add_f32_e32 v36, v35, v36
	v_cndmask_b32_e64 v34, v35, v36, s[4:5]
	v_and_b32_e32 v36, 16, v31
	v_cmp_eq_u32_e64 s[4:5], 0, v36
	v_mov_b32_dpp v35, v34 row_bcast:15 row_mask:0xf bank_mask:0xf
	v_add_f32_e32 v35, v34, v35
	v_cndmask_b32_e64 v34, v35, v34, s[4:5]
	v_cmp_lt_u32_e64 s[4:5], 31, v31
	v_and_b32_e32 v36, 64, v31
	v_mov_b32_dpp v35, v34 row_bcast:31 row_mask:0xf bank_mask:0xf
	v_add_f32_e32 v35, v34, v35
	v_cndmask_b32_e64 v34, v34, v35, s[4:5]
	v_add_u32_e32 v35, -1, v31
	v_cmp_lt_i32_e64 s[4:5], v35, v36
	s_nop 1
	v_cndmask_b32_e64 v31, v35, v31, s[4:5]
	v_lshlrev_b32_e32 v31, 2, v31
	ds_bpermute_b32 v31, v31, v34
	s_waitcnt lgkmcnt(0)
	v_add_f32_e32 v28, v28, v31
	v_cndmask_b32_e32 v28, v28, v26, vcc
	v_add_f32_e32 v29, v29, v28
	ds_write2_b32 v27, v28, v29 offset1:1
	v_add_f32_e32 v28, v32, v29
	v_add_f32_e32 v29, v33, v28
	ds_write2_b32 v27, v28, v29 offset0:2 offset1:3
.LBB71_82:
	s_or_b64 exec, exec, s[16:17]
	s_waitcnt lgkmcnt(0)
	s_barrier
	s_and_saveexec_b64 s[4:5], s[2:3]
	s_cbranch_execz .LBB71_84
; %bb.83:
	v_add_u32_e32 v26, -1, v0
	v_lshrrev_b32_e32 v27, 5, v26
	v_add_lshl_u32 v26, v27, v26, 2
	ds_read_b32 v26, v26
.LBB71_84:
	s_or_b64 exec, exec, s[4:5]
	s_waitcnt lgkmcnt(0)
	v_add_f32_e32 v26, v22, v26
	s_and_saveexec_b64 s[2:3], vcc
	s_cbranch_execz .LBB71_86
; %bb.85:
	v_mov_b32_e32 v28, 0
	ds_read_b32 v26, v28 offset:1048
	v_mov_b32_e32 v27, 2
	s_waitcnt lgkmcnt(0)
	global_store_dwordx2 v28, v[26:27], s[8:9] offset:512 sc1
	v_mov_b32_e32 v26, v22
.LBB71_86:
	s_or_b64 exec, exec, s[2:3]
.LBB71_87:
	v_add_f32_e32 v27, v23, v26
	v_add_f32_e32 v28, v24, v27
	;; [unrolled: 1-line block ×22, first 2 shown]
	s_add_u32 s2, s10, s14
	v_add_f32_e32 v5, v5, v4
	s_addc_u32 s3, s11, s15
	s_waitcnt lgkmcnt(0)
	s_mov_b64 s[4:5], -1
	s_and_b64 vcc, exec, s[12:13]
	s_barrier
	s_cbranch_vccz .LBB71_89
; %bb.88:
	v_mov_b32_e32 v31, 0
	ds_write_b128 v1, v[26:29]
	ds_write_b128 v1, v[18:21] offset:16
	ds_write_b128 v1, v[14:17] offset:32
	;; [unrolled: 1-line block ×5, first 2 shown]
	s_waitcnt lgkmcnt(0)
	s_barrier
	ds_read2st64_b32 v[22:23], v30 offset1:4
	ds_read2st64_b32 v[24:25], v30 offset0:8 offset1:12
	ds_read2st64_b32 v[32:33], v30 offset0:16 offset1:20
	;; [unrolled: 1-line block ×11, first 2 shown]
	v_lshl_add_u64 v[54:55], s[2:3], 0, v[30:31]
	s_movk_i32 s4, 0x1000
	s_waitcnt lgkmcnt(11)
	global_store_dword v30, v22, s[2:3]
	global_store_dword v30, v23, s[2:3] offset:1024
	s_waitcnt lgkmcnt(10)
	global_store_dword v30, v24, s[2:3] offset:2048
	global_store_dword v30, v25, s[2:3] offset:3072
	v_add_co_u32_e32 v22, vcc, s4, v54
	s_movk_i32 s4, 0x2000
	s_nop 0
	v_addc_co_u32_e32 v23, vcc, 0, v55, vcc
	v_add_co_u32_e32 v24, vcc, s4, v54
	s_movk_i32 s4, 0x3000
	s_nop 0
	v_addc_co_u32_e32 v25, vcc, 0, v55, vcc
	s_waitcnt lgkmcnt(9)
	global_store_dword v[24:25], v32, off offset:-4096
	global_store_dword v[22:23], v33, off offset:1024
	s_waitcnt lgkmcnt(8)
	global_store_dword v[22:23], v34, off offset:2048
	global_store_dword v[22:23], v35, off offset:3072
	s_waitcnt lgkmcnt(7)
	global_store_dword v[24:25], v36, off
	global_store_dword v[24:25], v37, off offset:1024
	s_waitcnt lgkmcnt(6)
	global_store_dword v[24:25], v40, off offset:2048
	global_store_dword v[24:25], v41, off offset:3072
	v_add_co_u32_e32 v22, vcc, s4, v54
	s_movk_i32 s4, 0x4000
	s_nop 0
	v_addc_co_u32_e32 v23, vcc, 0, v55, vcc
	v_add_co_u32_e32 v24, vcc, s4, v54
	s_mov_b64 s[4:5], 0
	s_nop 0
	v_addc_co_u32_e32 v25, vcc, 0, v55, vcc
	s_waitcnt lgkmcnt(5)
	global_store_dword v[24:25], v42, off offset:-4096
	global_store_dword v[22:23], v43, off offset:1024
	s_waitcnt lgkmcnt(4)
	global_store_dword v[22:23], v44, off offset:2048
	global_store_dword v[22:23], v45, off offset:3072
	s_waitcnt lgkmcnt(3)
	global_store_dword v[24:25], v46, off
	global_store_dword v[24:25], v47, off offset:1024
	s_waitcnt lgkmcnt(2)
	global_store_dword v[24:25], v48, off offset:2048
	global_store_dword v[24:25], v49, off offset:3072
	v_add_co_u32_e32 v22, vcc, 0x5000, v54
	s_nop 1
	v_addc_co_u32_e32 v23, vcc, 0, v55, vcc
	s_waitcnt lgkmcnt(1)
	global_store_dword v[22:23], v50, off
	global_store_dword v[22:23], v51, off offset:1024
	s_waitcnt lgkmcnt(0)
	global_store_dword v[22:23], v52, off offset:2048
	global_store_dword v[22:23], v53, off offset:3072
.LBB71_89:
	s_andn2_b64 vcc, exec, s[4:5]
	s_cbranch_vccnz .LBB71_146
; %bb.90:
	s_movk_i32 s4, 0xffa4
	ds_write_b128 v1, v[26:29]
	ds_write_b128 v1, v[18:21] offset:16
	ds_write_b128 v1, v[14:17] offset:32
	ds_write_b128 v1, v[10:13] offset:48
	ds_write_b128 v1, v[6:9] offset:64
	ds_write_b128 v1, v[2:5] offset:80
	v_mad_i32_i24 v1, v0, s4, v1
	s_waitcnt lgkmcnt(0)
	s_barrier
	ds_read2st64_b32 v[2:3], v1 offset1:4
	ds_read2st64_b32 v[4:5], v1 offset0:8 offset1:12
	ds_read2st64_b32 v[6:7], v1 offset0:16 offset1:20
	;; [unrolled: 1-line block ×11, first 2 shown]
	v_mov_b32_e32 v31, 0
	v_lshl_add_u64 v[26:27], s[2:3], 0, v[30:31]
	v_cmp_gt_u32_e32 vcc, s22, v0
	s_and_saveexec_b64 s[2:3], vcc
	s_cbranch_execz .LBB71_92
; %bb.91:
	s_waitcnt lgkmcnt(11)
	global_store_dword v[26:27], v2, off
.LBB71_92:
	s_or_b64 exec, exec, s[2:3]
	v_or_b32_e32 v1, 0x100, v0
	v_cmp_gt_u32_e32 vcc, s22, v1
	s_and_saveexec_b64 s[2:3], vcc
	s_cbranch_execz .LBB71_94
; %bb.93:
	s_waitcnt lgkmcnt(11)
	global_store_dword v[26:27], v3, off offset:1024
.LBB71_94:
	s_or_b64 exec, exec, s[2:3]
	v_or_b32_e32 v1, 0x200, v0
	v_cmp_gt_u32_e32 vcc, s22, v1
	s_and_saveexec_b64 s[2:3], vcc
	s_cbranch_execz .LBB71_96
; %bb.95:
	s_waitcnt lgkmcnt(10)
	global_store_dword v[26:27], v4, off offset:2048
.LBB71_96:
	;; [unrolled: 9-line block ×3, first 2 shown]
	s_or_b64 exec, exec, s[2:3]
	v_or_b32_e32 v1, 0x400, v0
	v_cmp_gt_u32_e32 vcc, s22, v1
	s_and_saveexec_b64 s[2:3], vcc
	s_cbranch_execz .LBB71_100
; %bb.99:
	v_add_co_u32_e32 v28, vcc, 0x1000, v26
	s_nop 1
	v_addc_co_u32_e32 v29, vcc, 0, v27, vcc
	s_waitcnt lgkmcnt(9)
	global_store_dword v[28:29], v6, off
.LBB71_100:
	s_or_b64 exec, exec, s[2:3]
	v_or_b32_e32 v1, 0x500, v0
	v_cmp_gt_u32_e32 vcc, s22, v1
	s_and_saveexec_b64 s[2:3], vcc
	s_cbranch_execz .LBB71_102
; %bb.101:
	v_add_co_u32_e32 v28, vcc, 0x1000, v26
	s_nop 1
	v_addc_co_u32_e32 v29, vcc, 0, v27, vcc
	s_waitcnt lgkmcnt(9)
	global_store_dword v[28:29], v7, off offset:1024
.LBB71_102:
	s_or_b64 exec, exec, s[2:3]
	v_or_b32_e32 v1, 0x600, v0
	v_cmp_gt_u32_e32 vcc, s22, v1
	s_and_saveexec_b64 s[2:3], vcc
	s_cbranch_execz .LBB71_104
; %bb.103:
	v_add_co_u32_e32 v28, vcc, 0x1000, v26
	s_nop 1
	v_addc_co_u32_e32 v29, vcc, 0, v27, vcc
	s_waitcnt lgkmcnt(8)
	global_store_dword v[28:29], v16, off offset:2048
.LBB71_104:
	s_or_b64 exec, exec, s[2:3]
	v_or_b32_e32 v1, 0x700, v0
	v_cmp_gt_u32_e32 vcc, s22, v1
	s_and_saveexec_b64 s[2:3], vcc
	s_cbranch_execz .LBB71_106
; %bb.105:
	v_add_co_u32_e32 v28, vcc, 0x1000, v26
	s_nop 1
	v_addc_co_u32_e32 v29, vcc, 0, v27, vcc
	s_waitcnt lgkmcnt(8)
	global_store_dword v[28:29], v17, off offset:3072
.LBB71_106:
	s_or_b64 exec, exec, s[2:3]
	v_or_b32_e32 v1, 0x800, v0
	v_cmp_gt_u32_e32 vcc, s22, v1
	s_and_saveexec_b64 s[2:3], vcc
	s_cbranch_execz .LBB71_108
; %bb.107:
	v_add_co_u32_e32 v28, vcc, 0x2000, v26
	s_nop 1
	v_addc_co_u32_e32 v29, vcc, 0, v27, vcc
	s_waitcnt lgkmcnt(7)
	global_store_dword v[28:29], v14, off
.LBB71_108:
	s_or_b64 exec, exec, s[2:3]
	v_or_b32_e32 v1, 0x900, v0
	v_cmp_gt_u32_e32 vcc, s22, v1
	s_and_saveexec_b64 s[2:3], vcc
	s_cbranch_execz .LBB71_110
; %bb.109:
	v_add_co_u32_e32 v28, vcc, 0x2000, v26
	s_nop 1
	v_addc_co_u32_e32 v29, vcc, 0, v27, vcc
	s_waitcnt lgkmcnt(7)
	global_store_dword v[28:29], v15, off offset:1024
.LBB71_110:
	s_or_b64 exec, exec, s[2:3]
	v_or_b32_e32 v1, 0xa00, v0
	v_cmp_gt_u32_e32 vcc, s22, v1
	s_and_saveexec_b64 s[2:3], vcc
	s_cbranch_execz .LBB71_112
; %bb.111:
	v_add_co_u32_e32 v28, vcc, 0x2000, v26
	s_nop 1
	v_addc_co_u32_e32 v29, vcc, 0, v27, vcc
	s_waitcnt lgkmcnt(6)
	global_store_dword v[28:29], v18, off offset:2048
.LBB71_112:
	s_or_b64 exec, exec, s[2:3]
	v_or_b32_e32 v1, 0xb00, v0
	v_cmp_gt_u32_e32 vcc, s22, v1
	s_and_saveexec_b64 s[2:3], vcc
	s_cbranch_execz .LBB71_114
; %bb.113:
	v_add_co_u32_e32 v28, vcc, 0x2000, v26
	s_nop 1
	v_addc_co_u32_e32 v29, vcc, 0, v27, vcc
	s_waitcnt lgkmcnt(6)
	global_store_dword v[28:29], v19, off offset:3072
.LBB71_114:
	;; [unrolled: 48-line block ×5, first 2 shown]
	s_or_b64 exec, exec, s[2:3]
	s_load_dword s0, s[0:1], 0x40
	s_waitcnt lgkmcnt(0)
	s_bfe_u32 s0, s0, 0x10008
	s_cmp_eq_u32 s0, 0
	s_cbranch_scc1 .LBB71_146
; %bb.139:
	s_add_u32 s0, s22, -1
	s_addc_u32 s1, s23, -1
	s_add_u32 s2, 0, 0xaaaa0000
	s_addc_u32 s3, 0, 42
	s_add_i32 s3, s3, 0xaaaaa80
	s_mul_hi_u32 s9, s2, 0xffffffe8
	s_sub_i32 s9, s9, s2
	s_mul_i32 s10, s3, 0xffffffe8
	s_mul_i32 s4, s2, 0xffffffe8
	s_add_i32 s9, s9, s10
	s_mul_hi_u32 s5, s3, s4
	s_mul_i32 s8, s3, s4
	s_mul_i32 s11, s2, s9
	s_mul_hi_u32 s4, s2, s4
	s_mul_hi_u32 s10, s2, s9
	s_add_u32 s4, s4, s11
	s_addc_u32 s10, 0, s10
	s_add_u32 s4, s4, s8
	s_mul_hi_u32 s11, s3, s9
	s_addc_u32 s4, s10, s5
	s_addc_u32 s5, s11, 0
	s_mul_i32 s8, s3, s9
	s_add_u32 s4, s4, s8
	v_mov_b32_e32 v26, s4
	s_addc_u32 s5, 0, s5
	v_add_co_u32_e32 v26, vcc, s2, v26
	s_cmp_lg_u64 vcc, 0
	s_addc_u32 s2, s3, s5
	v_readfirstlane_b32 s5, v26
	s_mul_i32 s4, s0, s2
	s_mul_hi_u32 s8, s0, s5
	s_mul_hi_u32 s3, s0, s2
	s_add_u32 s4, s8, s4
	s_addc_u32 s3, 0, s3
	s_mul_hi_u32 s9, s1, s5
	s_mul_i32 s5, s1, s5
	s_add_u32 s4, s4, s5
	s_mul_hi_u32 s8, s1, s2
	s_addc_u32 s3, s3, s9
	s_addc_u32 s4, s8, 0
	s_mul_i32 s2, s1, s2
	s_add_u32 s2, s3, s2
	s_addc_u32 s3, 0, s4
	s_add_u32 s4, s2, 1
	s_addc_u32 s5, s3, 0
	s_add_u32 s8, s2, 2
	s_mul_i32 s10, s3, 24
	s_mul_hi_u32 s11, s2, 24
	s_addc_u32 s9, s3, 0
	s_add_i32 s11, s11, s10
	s_mul_i32 s10, s2, 24
	v_mov_b32_e32 v26, s10
	v_sub_co_u32_e32 v26, vcc, s0, v26
	s_cmp_lg_u64 vcc, 0
	s_subb_u32 s10, s1, s11
	v_subrev_co_u32_e32 v27, vcc, 24, v26
	s_cmp_lg_u64 vcc, 0
	s_subb_u32 s11, s10, 0
	v_readfirstlane_b32 s12, v27
	s_cmp_gt_u32 s12, 23
	s_cselect_b32 s12, -1, 0
	s_cmp_eq_u32 s11, 0
	s_cselect_b32 s11, s12, -1
	s_cmp_lg_u32 s11, 0
	s_cselect_b32 s4, s8, s4
	v_readfirstlane_b32 s8, v26
	s_cselect_b32 s5, s9, s5
	s_cmp_gt_u32 s8, 23
	s_cselect_b32 s8, -1, 0
	s_cmp_eq_u32 s10, 0
	s_cselect_b32 s8, s8, -1
	s_cmp_lg_u32 s8, 0
	v_mov_b32_e32 v1, v31
	s_cselect_b32 s3, s5, s3
	s_cselect_b32 s2, s4, s2
	v_cmp_eq_u64_e32 vcc, s[2:3], v[0:1]
	s_and_saveexec_b64 s[2:3], vcc
	s_cbranch_execz .LBB71_146
; %bb.140:
	v_mul_hi_u32_u24_e32 v1, 24, v0
	v_mov_b32_e32 v26, s1
	v_sub_co_u32_e32 v0, vcc, s0, v38
	s_mov_b64 s[0:1], 0
	s_nop 0
	v_subb_co_u32_e32 v1, vcc, v26, v1, vcc
	v_cmp_lt_i64_e32 vcc, 11, v[0:1]
	s_mov_b64 s[10:11], 0
	s_mov_b64 s[8:9], 0
	;; [unrolled: 1-line block ×3, first 2 shown]
	s_and_saveexec_b64 s[2:3], vcc
	s_xor_b64 s[2:3], exec, s[2:3]
	s_cbranch_execnz .LBB71_147
; %bb.141:
	s_andn2_saveexec_b64 s[2:3], s[2:3]
	s_cbranch_execnz .LBB71_192
.LBB71_142:
	s_or_b64 exec, exec, s[2:3]
	s_and_saveexec_b64 s[2:3], s[10:11]
	s_cbranch_execnz .LBB71_207
.LBB71_143:
	s_or_b64 exec, exec, s[2:3]
	s_and_saveexec_b64 s[2:3], s[8:9]
	s_cbranch_execnz .LBB71_208
.LBB71_144:
	s_or_b64 exec, exec, s[2:3]
	s_and_saveexec_b64 s[2:3], s[4:5]
	s_xor_b64 s[2:3], exec, s[2:3]
	s_cbranch_execnz .LBB71_209
.LBB71_145:
	s_or_b64 exec, exec, s[2:3]
	s_and_b64 exec, exec, s[0:1]
	s_cbranch_execnz .LBB71_210
.LBB71_146:
	s_endpgm
.LBB71_147:
	v_cmp_lt_i64_e32 vcc, 17, v[0:1]
	s_and_saveexec_b64 s[12:13], vcc
	s_xor_b64 s[12:13], exec, s[12:13]
	s_cbranch_execz .LBB71_169
; %bb.148:
	v_cmp_lt_i64_e32 vcc, 20, v[0:1]
                                        ; implicit-def: $vgpr9
	s_and_saveexec_b64 s[14:15], vcc
	s_xor_b64 s[14:15], exec, s[14:15]
	s_cbranch_execz .LBB71_158
; %bb.149:
	v_cmp_lt_i64_e32 vcc, 21, v[0:1]
	s_mov_b64 s[16:17], 0
                                        ; implicit-def: $vgpr9
	s_and_saveexec_b64 s[4:5], vcc
	s_xor_b64 s[4:5], exec, s[4:5]
	s_cbranch_execz .LBB71_155
; %bb.150:
	v_cmp_lt_i64_e32 vcc, 22, v[0:1]
	s_and_saveexec_b64 s[16:17], vcc
	s_xor_b64 s[16:17], exec, s[16:17]
	s_cbranch_execz .LBB71_152
; %bb.151:
	v_mov_b32_e32 v8, 0
	global_store_dword v8, v25, s[6:7]
                                        ; implicit-def: $vgpr24
.LBB71_152:
	s_or_saveexec_b64 s[16:17], s[16:17]
	s_mov_b64 s[18:19], 0
	s_xor_b64 exec, exec, s[16:17]
; %bb.153:
	s_mov_b64 s[18:19], exec
; %bb.154:
	s_or_b64 exec, exec, s[16:17]
	s_and_b64 s[16:17], s[18:19], exec
	v_mov_b32_e32 v9, v24
                                        ; implicit-def: $vgpr11
.LBB71_155:
	s_andn2_saveexec_b64 s[4:5], s[4:5]
; %bb.156:
	s_mov_b64 s[8:9], exec
                                        ; implicit-def: $vgpr9
; %bb.157:
	s_or_b64 exec, exec, s[4:5]
	s_and_b64 s[4:5], s[16:17], exec
	s_and_b64 s[8:9], s[8:9], exec
                                        ; implicit-def: $vgpr20_vgpr21
.LBB71_158:
	s_andn2_saveexec_b64 s[14:15], s[14:15]
	s_cbranch_execz .LBB71_168
; %bb.159:
	v_cmp_lt_i64_e32 vcc, 18, v[0:1]
	s_mov_b64 s[16:17], 0
	s_and_saveexec_b64 s[10:11], vcc
	s_xor_b64 s[10:11], exec, s[10:11]
	s_cbranch_execz .LBB71_165
; %bb.160:
	v_cmp_lt_i64_e32 vcc, 19, v[0:1]
	s_and_saveexec_b64 s[18:19], vcc
	s_xor_b64 s[18:19], exec, s[18:19]
; %bb.161:
	s_mov_b64 s[16:17], exec
                                        ; implicit-def: $vgpr20_vgpr21
; %bb.162:
	s_andn2_saveexec_b64 s[18:19], s[18:19]
	s_cbranch_execz .LBB71_164
; %bb.163:
	v_mov_b32_e32 v8, 0
	global_store_dword v8, v21, s[6:7]
                                        ; implicit-def: $vgpr10
.LBB71_164:
	s_or_b64 exec, exec, s[18:19]
	s_and_b64 s[16:17], s[16:17], exec
                                        ; implicit-def: $vgpr20_vgpr21
.LBB71_165:
	s_andn2_saveexec_b64 s[10:11], s[10:11]
	s_cbranch_execz .LBB71_167
; %bb.166:
	v_mov_b32_e32 v8, 0
	global_store_dword v8, v20, s[6:7]
                                        ; implicit-def: $vgpr10
.LBB71_167:
	s_or_b64 exec, exec, s[10:11]
	s_and_b64 s[10:11], s[16:17], exec
                                        ; implicit-def: $vgpr9
.LBB71_168:
	s_or_b64 exec, exec, s[14:15]
	s_and_b64 s[4:5], s[4:5], exec
	s_and_b64 s[8:9], s[8:9], exec
	;; [unrolled: 1-line block ×3, first 2 shown]
                                        ; implicit-def: $vgpr12
                                        ; implicit-def: $vgpr22_vgpr23
.LBB71_169:
	s_andn2_saveexec_b64 s[12:13], s[12:13]
	s_cbranch_execz .LBB71_191
; %bb.170:
	v_cmp_lt_i64_e32 vcc, 14, v[0:1]
	s_mov_b64 s[14:15], s[4:5]
	s_and_saveexec_b64 s[16:17], vcc
	s_xor_b64 s[16:17], exec, s[16:17]
	s_cbranch_execz .LBB71_180
; %bb.171:
	v_cmp_lt_i64_e32 vcc, 15, v[0:1]
	s_and_saveexec_b64 s[14:15], vcc
	s_xor_b64 s[14:15], exec, s[14:15]
	s_cbranch_execz .LBB71_177
; %bb.172:
	v_cmp_lt_i64_e32 vcc, 16, v[0:1]
	s_and_saveexec_b64 s[18:19], vcc
	s_xor_b64 s[18:19], exec, s[18:19]
	s_cbranch_execz .LBB71_174
; %bb.173:
	v_mov_b32_e32 v8, 0
	global_store_dword v8, v23, s[6:7]
                                        ; implicit-def: $vgpr22_vgpr23
.LBB71_174:
	s_andn2_saveexec_b64 s[18:19], s[18:19]
	s_cbranch_execz .LBB71_176
; %bb.175:
	v_mov_b32_e32 v8, 0
	global_store_dword v8, v22, s[6:7]
.LBB71_176:
	s_or_b64 exec, exec, s[18:19]
                                        ; implicit-def: $vgpr9
.LBB71_177:
	s_or_saveexec_b64 s[14:15], s[14:15]
	s_mov_b64 s[18:19], s[4:5]
	s_xor_b64 exec, exec, s[14:15]
; %bb.178:
	s_or_b64 s[18:19], s[4:5], exec
; %bb.179:
	s_or_b64 exec, exec, s[14:15]
	s_andn2_b64 s[14:15], s[4:5], exec
	s_and_b64 s[18:19], s[18:19], exec
	s_or_b64 s[14:15], s[14:15], s[18:19]
                                        ; implicit-def: $vgpr12
.LBB71_180:
	s_or_saveexec_b64 s[16:17], s[16:17]
	s_mov_b64 s[18:19], s[8:9]
                                        ; implicit-def: $vgpr11
	s_xor_b64 exec, exec, s[16:17]
	s_cbranch_execz .LBB71_190
; %bb.181:
	v_cmp_lt_i64_e32 vcc, 12, v[0:1]
	s_mov_b64 s[20:21], s[8:9]
	s_mov_b64 s[22:23], s[14:15]
                                        ; implicit-def: $vgpr11
	s_and_saveexec_b64 s[18:19], vcc
	s_xor_b64 s[18:19], exec, s[18:19]
	s_cbranch_execz .LBB71_187
; %bb.182:
	v_cmp_lt_i64_e32 vcc, 13, v[0:1]
	s_mov_b64 s[20:21], s[14:15]
	s_and_saveexec_b64 s[22:23], vcc
	s_xor_b64 s[22:23], exec, s[22:23]
; %bb.183:
	s_or_b64 s[20:21], s[14:15], exec
                                        ; implicit-def: $vgpr13
; %bb.184:
	s_or_saveexec_b64 s[22:23], s[22:23]
	s_mov_b64 s[24:25], s[8:9]
	s_xor_b64 exec, exec, s[22:23]
; %bb.185:
	s_or_b64 s[24:25], s[8:9], exec
                                        ; implicit-def: $vgpr8
; %bb.186:
	s_or_b64 exec, exec, s[22:23]
	s_andn2_b64 s[22:23], s[14:15], exec
	s_and_b64 s[20:21], s[20:21], exec
	s_or_b64 s[22:23], s[22:23], s[20:21]
	s_andn2_b64 s[20:21], s[8:9], exec
	s_and_b64 s[24:25], s[24:25], exec
	s_or_b64 s[20:21], s[20:21], s[24:25]
	v_mov_b32_e32 v9, v8
	v_mov_b32_e32 v11, v13
                                        ; implicit-def: $vgpr12
.LBB71_187:
	s_andn2_saveexec_b64 s[18:19], s[18:19]
; %bb.188:
	s_or_b64 s[20:21], s[20:21], exec
                                        ; implicit-def: $vgpr9
	v_mov_b32_e32 v11, v12
; %bb.189:
	s_or_b64 exec, exec, s[18:19]
	s_andn2_b64 s[14:15], s[14:15], exec
	s_and_b64 s[18:19], s[22:23], exec
	s_or_b64 s[14:15], s[14:15], s[18:19]
	s_andn2_b64 s[18:19], s[8:9], exec
	s_and_b64 s[20:21], s[20:21], exec
	s_or_b64 s[18:19], s[18:19], s[20:21]
.LBB71_190:
	s_or_b64 exec, exec, s[16:17]
	s_andn2_b64 s[4:5], s[4:5], exec
	s_and_b64 s[14:15], s[14:15], exec
	s_or_b64 s[4:5], s[4:5], s[14:15]
	s_andn2_b64 s[8:9], s[8:9], exec
	s_and_b64 s[14:15], s[18:19], exec
	s_or_b64 s[8:9], s[8:9], s[14:15]
.LBB71_191:
	s_or_b64 exec, exec, s[12:13]
	s_and_b64 s[4:5], s[4:5], exec
	s_and_b64 s[8:9], s[8:9], exec
	s_and_b64 s[10:11], s[10:11], exec
                                        ; implicit-def: $vgpr16
                                        ; implicit-def: $vgpr14
                                        ; implicit-def: $vgpr18
	s_andn2_saveexec_b64 s[2:3], s[2:3]
	s_cbranch_execz .LBB71_142
.LBB71_192:
	v_cmp_lt_i64_e32 vcc, 5, v[0:1]
	s_mov_b64 s[14:15], -1
	s_mov_b64 s[12:13], s[10:11]
	s_mov_b64 s[16:17], s[8:9]
	;; [unrolled: 1-line block ×3, first 2 shown]
                                        ; implicit-def: $vgpr9
                                        ; implicit-def: $vgpr11
	s_and_saveexec_b64 s[0:1], vcc
	s_cbranch_execz .LBB71_206
; %bb.193:
	v_cmp_lt_i64_e32 vcc, 8, v[0:1]
	s_mov_b64 s[12:13], s[10:11]
                                        ; implicit-def: $vgpr10
	s_and_saveexec_b64 s[14:15], vcc
	s_xor_b64 s[14:15], exec, s[14:15]
	s_cbranch_execz .LBB71_201
; %bb.194:
	v_cmp_lt_i64_e32 vcc, 9, v[0:1]
	s_and_saveexec_b64 s[12:13], vcc
	s_xor_b64 s[12:13], exec, s[12:13]
	s_cbranch_execz .LBB71_198
; %bb.195:
	v_cmp_lt_i64_e32 vcc, 10, v[0:1]
	s_and_saveexec_b64 s[16:17], vcc
	s_xor_b64 s[16:17], exec, s[16:17]
	s_andn2_saveexec_b64 s[16:17], s[16:17]
; %bb.196:
	v_mov_b32_e32 v19, v18
; %bb.197:
	s_or_b64 exec, exec, s[16:17]
                                        ; implicit-def: $vgpr15
.LBB71_198:
	s_andn2_saveexec_b64 s[12:13], s[12:13]
; %bb.199:
	v_mov_b32_e32 v19, v15
; %bb.200:
	s_or_b64 exec, exec, s[12:13]
	s_or_b64 s[12:13], s[10:11], exec
	v_mov_b32_e32 v10, v19
                                        ; implicit-def: $vgpr16
                                        ; implicit-def: $vgpr14
.LBB71_201:
	s_or_saveexec_b64 s[14:15], s[14:15]
	s_mov_b64 s[16:17], s[8:9]
	s_mov_b64 s[20:21], s[4:5]
                                        ; implicit-def: $vgpr9
	s_xor_b64 exec, exec, s[14:15]
	s_cbranch_execz .LBB71_205
; %bb.202:
	v_cmp_lt_i64_e32 vcc, 6, v[0:1]
	s_mov_b64 s[20:21], -1
	s_mov_b64 s[18:19], s[12:13]
	s_mov_b64 s[16:17], s[8:9]
	s_and_saveexec_b64 s[22:23], vcc
; %bb.203:
	v_cmp_lt_i64_e32 vcc, 7, v[0:1]
	s_andn2_b64 s[18:19], s[12:13], exec
	s_and_b64 s[24:25], vcc, exec
	s_xor_b64 s[20:21], exec, -1
	s_or_b64 s[16:17], s[8:9], exec
	s_or_b64 s[18:19], s[18:19], s[24:25]
; %bb.204:
	s_or_b64 exec, exec, s[22:23]
	s_andn2_b64 s[22:23], s[4:5], exec
	s_and_b64 s[20:21], s[20:21], exec
	s_or_b64 s[20:21], s[22:23], s[20:21]
	s_andn2_b64 s[22:23], s[8:9], exec
	s_and_b64 s[16:17], s[16:17], exec
	s_andn2_b64 s[12:13], s[12:13], exec
	s_and_b64 s[18:19], s[18:19], exec
	s_or_b64 s[16:17], s[22:23], s[16:17]
	s_or_b64 s[12:13], s[12:13], s[18:19]
	v_mov_b32_e32 v9, v16
	v_mov_b32_e32 v11, v17
	;; [unrolled: 1-line block ×3, first 2 shown]
.LBB71_205:
	s_or_b64 exec, exec, s[14:15]
	s_andn2_b64 s[18:19], s[4:5], exec
	s_and_b64 s[20:21], s[20:21], exec
	s_or_b64 s[18:19], s[18:19], s[20:21]
	s_andn2_b64 s[20:21], s[8:9], exec
	s_and_b64 s[16:17], s[16:17], exec
	s_or_b64 s[16:17], s[20:21], s[16:17]
	s_andn2_b64 s[20:21], s[10:11], exec
	s_and_b64 s[12:13], s[12:13], exec
	s_xor_b64 s[14:15], exec, -1
	s_or_b64 s[12:13], s[20:21], s[12:13]
.LBB71_206:
	s_or_b64 exec, exec, s[0:1]
	s_and_b64 s[0:1], s[14:15], exec
	s_andn2_b64 s[4:5], s[4:5], exec
	s_and_b64 s[14:15], s[18:19], exec
	s_or_b64 s[4:5], s[4:5], s[14:15]
	s_andn2_b64 s[8:9], s[8:9], exec
	s_and_b64 s[14:15], s[16:17], exec
	s_andn2_b64 s[10:11], s[10:11], exec
	s_and_b64 s[12:13], s[12:13], exec
	s_or_b64 s[8:9], s[8:9], s[14:15]
	s_or_b64 s[10:11], s[10:11], s[12:13]
	s_or_b64 exec, exec, s[2:3]
	s_and_saveexec_b64 s[2:3], s[10:11]
	s_cbranch_execz .LBB71_143
.LBB71_207:
	v_mov_b32_e32 v8, 0
	s_andn2_b64 s[8:9], s[8:9], exec
	global_store_dword v8, v10, s[6:7]
                                        ; implicit-def: $vgpr9
                                        ; implicit-def: $vgpr11
	s_or_b64 exec, exec, s[2:3]
	s_and_saveexec_b64 s[2:3], s[8:9]
	s_cbranch_execz .LBB71_144
.LBB71_208:
	v_mov_b32_e32 v8, 0
	global_store_dword v8, v11, s[6:7]
                                        ; implicit-def: $vgpr9
	s_or_b64 exec, exec, s[2:3]
	s_and_saveexec_b64 s[2:3], s[4:5]
	s_xor_b64 s[2:3], exec, s[2:3]
	s_cbranch_execz .LBB71_145
.LBB71_209:
	v_mov_b32_e32 v8, 0
	global_store_dword v8, v9, s[6:7]
	s_or_b64 exec, exec, s[2:3]
	s_and_b64 exec, exec, s[0:1]
	s_cbranch_execz .LBB71_146
.LBB71_210:
	v_cmp_lt_i64_e32 vcc, 2, v[0:1]
	s_and_saveexec_b64 s[0:1], vcc
	s_xor_b64 s[0:1], exec, s[0:1]
	s_cbranch_execz .LBB71_220
; %bb.211:
	v_cmp_lt_i64_e32 vcc, 3, v[0:1]
	s_and_saveexec_b64 s[2:3], vcc
	s_xor_b64 s[2:3], exec, s[2:3]
	s_cbranch_execz .LBB71_217
; %bb.212:
	;; [unrolled: 5-line block ×3, first 2 shown]
	v_mov_b32_e32 v0, 0
	global_store_dword v0, v7, s[6:7]
                                        ; implicit-def: $vgpr6_vgpr7
.LBB71_214:
	s_andn2_saveexec_b64 s[4:5], s[4:5]
	s_cbranch_execz .LBB71_216
; %bb.215:
	v_mov_b32_e32 v0, 0
	global_store_dword v0, v6, s[6:7]
.LBB71_216:
	s_or_b64 exec, exec, s[4:5]
                                        ; implicit-def: $vgpr4_vgpr5
.LBB71_217:
	s_andn2_saveexec_b64 s[2:3], s[2:3]
	s_cbranch_execz .LBB71_219
; %bb.218:
	v_mov_b32_e32 v0, 0
	global_store_dword v0, v5, s[6:7]
.LBB71_219:
	s_or_b64 exec, exec, s[2:3]
                                        ; implicit-def: $vgpr0_vgpr1
                                        ; implicit-def: $vgpr4_vgpr5
                                        ; implicit-def: $vgpr2_vgpr3
.LBB71_220:
	s_andn2_saveexec_b64 s[0:1], s[0:1]
	s_cbranch_execz .LBB71_146
; %bb.221:
	v_cmp_lt_i64_e32 vcc, 1, v[0:1]
	s_and_saveexec_b64 s[0:1], vcc
	s_xor_b64 s[0:1], exec, s[0:1]
	s_cbranch_execz .LBB71_223
; %bb.222:
	v_mov_b32_e32 v0, 0
	global_store_dword v0, v4, s[6:7]
                                        ; implicit-def: $vgpr2_vgpr3
                                        ; implicit-def: $vgpr0_vgpr1
.LBB71_223:
	s_andn2_saveexec_b64 s[0:1], s[0:1]
	s_cbranch_execz .LBB71_146
; %bb.224:
	v_cmp_ne_u64_e32 vcc, 1, v[0:1]
	s_and_saveexec_b64 s[0:1], vcc
	s_xor_b64 s[0:1], exec, s[0:1]
	s_cbranch_execz .LBB71_226
; %bb.225:
	v_mov_b32_e32 v0, 0
	global_store_dword v0, v2, s[6:7]
                                        ; implicit-def: $vgpr2_vgpr3
.LBB71_226:
	s_andn2_saveexec_b64 s[0:1], s[0:1]
	s_cbranch_execz .LBB71_146
; %bb.227:
	v_mov_b32_e32 v0, 0
	global_store_dword v0, v3, s[6:7]
	s_endpgm
	.section	.rodata,"a",@progbits
	.p2align	6, 0x0
	.amdhsa_kernel _ZN7rocprim17ROCPRIM_304000_NS6detail20lookback_scan_kernelILNS1_25lookback_scan_determinismE0ELb0ENS1_19wrapped_scan_configINS0_14default_configEfEEPKfPfSt4plusIfEffNS1_19lookback_scan_stateIfLb0ELb1EEEEEvT2_T3_mT5_T4_T7_jPT6_SK_bb
		.amdhsa_group_segment_fixed_size 24576
		.amdhsa_private_segment_fixed_size 0
		.amdhsa_kernarg_size 68
		.amdhsa_user_sgpr_count 2
		.amdhsa_user_sgpr_dispatch_ptr 0
		.amdhsa_user_sgpr_queue_ptr 0
		.amdhsa_user_sgpr_kernarg_segment_ptr 1
		.amdhsa_user_sgpr_dispatch_id 0
		.amdhsa_user_sgpr_kernarg_preload_length 0
		.amdhsa_user_sgpr_kernarg_preload_offset 0
		.amdhsa_user_sgpr_private_segment_size 0
		.amdhsa_uses_dynamic_stack 0
		.amdhsa_enable_private_segment 0
		.amdhsa_system_sgpr_workgroup_id_x 1
		.amdhsa_system_sgpr_workgroup_id_y 0
		.amdhsa_system_sgpr_workgroup_id_z 0
		.amdhsa_system_sgpr_workgroup_info 0
		.amdhsa_system_vgpr_workitem_id 0
		.amdhsa_next_free_vgpr 56
		.amdhsa_next_free_sgpr 26
		.amdhsa_accum_offset 56
		.amdhsa_reserve_vcc 1
		.amdhsa_float_round_mode_32 0
		.amdhsa_float_round_mode_16_64 0
		.amdhsa_float_denorm_mode_32 3
		.amdhsa_float_denorm_mode_16_64 3
		.amdhsa_dx10_clamp 1
		.amdhsa_ieee_mode 1
		.amdhsa_fp16_overflow 0
		.amdhsa_tg_split 0
		.amdhsa_exception_fp_ieee_invalid_op 0
		.amdhsa_exception_fp_denorm_src 0
		.amdhsa_exception_fp_ieee_div_zero 0
		.amdhsa_exception_fp_ieee_overflow 0
		.amdhsa_exception_fp_ieee_underflow 0
		.amdhsa_exception_fp_ieee_inexact 0
		.amdhsa_exception_int_div_zero 0
	.end_amdhsa_kernel
	.section	.text._ZN7rocprim17ROCPRIM_304000_NS6detail20lookback_scan_kernelILNS1_25lookback_scan_determinismE0ELb0ENS1_19wrapped_scan_configINS0_14default_configEfEEPKfPfSt4plusIfEffNS1_19lookback_scan_stateIfLb0ELb1EEEEEvT2_T3_mT5_T4_T7_jPT6_SK_bb,"axG",@progbits,_ZN7rocprim17ROCPRIM_304000_NS6detail20lookback_scan_kernelILNS1_25lookback_scan_determinismE0ELb0ENS1_19wrapped_scan_configINS0_14default_configEfEEPKfPfSt4plusIfEffNS1_19lookback_scan_stateIfLb0ELb1EEEEEvT2_T3_mT5_T4_T7_jPT6_SK_bb,comdat
.Lfunc_end71:
	.size	_ZN7rocprim17ROCPRIM_304000_NS6detail20lookback_scan_kernelILNS1_25lookback_scan_determinismE0ELb0ENS1_19wrapped_scan_configINS0_14default_configEfEEPKfPfSt4plusIfEffNS1_19lookback_scan_stateIfLb0ELb1EEEEEvT2_T3_mT5_T4_T7_jPT6_SK_bb, .Lfunc_end71-_ZN7rocprim17ROCPRIM_304000_NS6detail20lookback_scan_kernelILNS1_25lookback_scan_determinismE0ELb0ENS1_19wrapped_scan_configINS0_14default_configEfEEPKfPfSt4plusIfEffNS1_19lookback_scan_stateIfLb0ELb1EEEEEvT2_T3_mT5_T4_T7_jPT6_SK_bb
                                        ; -- End function
	.section	.AMDGPU.csdata,"",@progbits
; Kernel info:
; codeLenInByte = 7764
; NumSgprs: 32
; NumVgprs: 56
; NumAgprs: 0
; TotalNumVgprs: 56
; ScratchSize: 0
; MemoryBound: 0
; FloatMode: 240
; IeeeMode: 1
; LDSByteSize: 24576 bytes/workgroup (compile time only)
; SGPRBlocks: 3
; VGPRBlocks: 6
; NumSGPRsForWavesPerEU: 32
; NumVGPRsForWavesPerEU: 56
; AccumOffset: 56
; Occupancy: 2
; WaveLimiterHint : 1
; COMPUTE_PGM_RSRC2:SCRATCH_EN: 0
; COMPUTE_PGM_RSRC2:USER_SGPR: 2
; COMPUTE_PGM_RSRC2:TRAP_HANDLER: 0
; COMPUTE_PGM_RSRC2:TGID_X_EN: 1
; COMPUTE_PGM_RSRC2:TGID_Y_EN: 0
; COMPUTE_PGM_RSRC2:TGID_Z_EN: 0
; COMPUTE_PGM_RSRC2:TIDIG_COMP_CNT: 0
; COMPUTE_PGM_RSRC3_GFX90A:ACCUM_OFFSET: 13
; COMPUTE_PGM_RSRC3_GFX90A:TG_SPLIT: 0
	.section	.text._ZN7rocprim17ROCPRIM_304000_NS6detail16transform_kernelINS1_24wrapped_transform_configINS0_14default_configEfEEfPfS6_NS0_8identityIfEEEEvT1_mT2_T3_,"axG",@progbits,_ZN7rocprim17ROCPRIM_304000_NS6detail16transform_kernelINS1_24wrapped_transform_configINS0_14default_configEfEEfPfS6_NS0_8identityIfEEEEvT1_mT2_T3_,comdat
	.protected	_ZN7rocprim17ROCPRIM_304000_NS6detail16transform_kernelINS1_24wrapped_transform_configINS0_14default_configEfEEfPfS6_NS0_8identityIfEEEEvT1_mT2_T3_ ; -- Begin function _ZN7rocprim17ROCPRIM_304000_NS6detail16transform_kernelINS1_24wrapped_transform_configINS0_14default_configEfEEfPfS6_NS0_8identityIfEEEEvT1_mT2_T3_
	.globl	_ZN7rocprim17ROCPRIM_304000_NS6detail16transform_kernelINS1_24wrapped_transform_configINS0_14default_configEfEEfPfS6_NS0_8identityIfEEEEvT1_mT2_T3_
	.p2align	8
	.type	_ZN7rocprim17ROCPRIM_304000_NS6detail16transform_kernelINS1_24wrapped_transform_configINS0_14default_configEfEEfPfS6_NS0_8identityIfEEEEvT1_mT2_T3_,@function
_ZN7rocprim17ROCPRIM_304000_NS6detail16transform_kernelINS1_24wrapped_transform_configINS0_14default_configEfEEfPfS6_NS0_8identityIfEEEEvT1_mT2_T3_: ; @_ZN7rocprim17ROCPRIM_304000_NS6detail16transform_kernelINS1_24wrapped_transform_configINS0_14default_configEfEEfPfS6_NS0_8identityIfEEEEvT1_mT2_T3_
; %bb.0:
	s_load_dword s3, s[0:1], 0x20
	s_load_dwordx4 s[4:7], s[0:1], 0x0
	s_load_dwordx2 s[8:9], s[0:1], 0x10
	s_lshl_b32 s0, s2, 10
	s_mov_b32 s1, 0
	s_waitcnt lgkmcnt(0)
	s_add_i32 s3, s3, -1
	s_lshl_b64 s[10:11], s[0:1], 2
	s_add_u32 s4, s4, s10
	s_addc_u32 s5, s5, s11
	v_mov_b32_e32 v7, 0
	v_lshlrev_b32_e32 v6, 2, v0
	s_cmp_lg_u32 s2, s3
	v_lshl_add_u64 v[8:9], s[4:5], 0, v[6:7]
	s_cbranch_scc0 .LBB72_2
; %bb.1:
	global_load_dword v2, v[8:9], off
	global_load_dword v3, v[8:9], off offset:1024
	global_load_dword v4, v[8:9], off offset:2048
	;; [unrolled: 1-line block ×3, first 2 shown]
	s_add_u32 s4, s8, s10
	s_addc_u32 s5, s9, s11
	s_mov_b64 s[12:13], -1
	s_waitcnt vmcnt(3)
	global_store_dword v6, v2, s[4:5]
	s_waitcnt vmcnt(3)
	global_store_dword v6, v3, s[4:5] offset:1024
	s_waitcnt vmcnt(3)
	global_store_dword v6, v4, s[4:5] offset:2048
	s_cbranch_execz .LBB72_3
	s_branch .LBB72_17
.LBB72_2:
	s_mov_b64 s[12:13], 0
                                        ; implicit-def: $vgpr1
.LBB72_3:
	s_sub_i32 s6, s6, s0
	v_cmp_gt_u32_e32 vcc, s6, v0
                                        ; implicit-def: $vgpr2_vgpr3_vgpr4_vgpr5
	s_and_saveexec_b64 s[0:1], vcc
	s_cbranch_execz .LBB72_5
; %bb.4:
	global_load_dword v2, v[8:9], off
.LBB72_5:
	s_or_b64 exec, exec, s[0:1]
	s_waitcnt vmcnt(3)
	v_or_b32_e32 v1, 0x100, v0
	v_cmp_gt_u32_e64 s[0:1], s6, v1
	s_and_saveexec_b64 s[2:3], s[0:1]
	s_cbranch_execz .LBB72_7
; %bb.6:
	global_load_dword v3, v[8:9], off offset:1024
.LBB72_7:
	s_or_b64 exec, exec, s[2:3]
	v_or_b32_e32 v1, 0x200, v0
	v_cmp_gt_u32_e64 s[2:3], s6, v1
	s_and_saveexec_b64 s[4:5], s[2:3]
	s_cbranch_execz .LBB72_9
; %bb.8:
	global_load_dword v4, v[8:9], off offset:2048
.LBB72_9:
	s_or_b64 exec, exec, s[4:5]
	;; [unrolled: 8-line block ×3, first 2 shown]
	s_add_u32 s6, s8, s10
	s_addc_u32 s7, s9, s11
	v_mov_b32_e32 v7, 0
	v_lshl_add_u64 v[0:1], s[6:7], 0, v[6:7]
	s_and_saveexec_b64 s[6:7], vcc
	s_cbranch_execnz .LBB72_20
; %bb.12:
	s_or_b64 exec, exec, s[6:7]
	s_and_saveexec_b64 s[6:7], s[0:1]
	s_cbranch_execnz .LBB72_21
.LBB72_13:
	s_or_b64 exec, exec, s[6:7]
	s_and_saveexec_b64 s[0:1], s[2:3]
	s_cbranch_execnz .LBB72_22
.LBB72_14:
	s_or_b64 exec, exec, s[0:1]
                                        ; implicit-def: $vgpr1
	s_and_saveexec_b64 s[0:1], s[4:5]
	s_cbranch_execz .LBB72_16
.LBB72_15:
	s_waitcnt vmcnt(0)
	v_cndmask_b32_e64 v1, v5, v5, s[4:5]
	s_or_b64 s[12:13], s[12:13], exec
.LBB72_16:
	s_or_b64 exec, exec, s[0:1]
.LBB72_17:
	s_and_saveexec_b64 s[0:1], s[12:13]
	s_cbranch_execnz .LBB72_19
; %bb.18:
	s_endpgm
.LBB72_19:
	s_add_u32 s0, s8, s10
	s_addc_u32 s1, s9, s11
	s_waitcnt vmcnt(3)
	global_store_dword v6, v1, s[0:1] offset:3072
	s_endpgm
.LBB72_20:
	s_waitcnt vmcnt(0)
	global_store_dword v[0:1], v2, off
	s_or_b64 exec, exec, s[6:7]
	s_and_saveexec_b64 s[6:7], s[0:1]
	s_cbranch_execz .LBB72_13
.LBB72_21:
	s_waitcnt vmcnt(0)
	global_store_dword v[0:1], v3, off offset:1024
	s_or_b64 exec, exec, s[6:7]
	s_and_saveexec_b64 s[0:1], s[2:3]
	s_cbranch_execz .LBB72_14
.LBB72_22:
	s_waitcnt vmcnt(0)
	v_cndmask_b32_e64 v2, v4, v4, s[2:3]
	global_store_dword v[0:1], v2, off offset:2048
	s_or_b64 exec, exec, s[0:1]
                                        ; implicit-def: $vgpr1
	s_and_saveexec_b64 s[0:1], s[4:5]
	s_cbranch_execnz .LBB72_15
	s_branch .LBB72_16
	.section	.rodata,"a",@progbits
	.p2align	6, 0x0
	.amdhsa_kernel _ZN7rocprim17ROCPRIM_304000_NS6detail16transform_kernelINS1_24wrapped_transform_configINS0_14default_configEfEEfPfS6_NS0_8identityIfEEEEvT1_mT2_T3_
		.amdhsa_group_segment_fixed_size 0
		.amdhsa_private_segment_fixed_size 0
		.amdhsa_kernarg_size 288
		.amdhsa_user_sgpr_count 2
		.amdhsa_user_sgpr_dispatch_ptr 0
		.amdhsa_user_sgpr_queue_ptr 0
		.amdhsa_user_sgpr_kernarg_segment_ptr 1
		.amdhsa_user_sgpr_dispatch_id 0
		.amdhsa_user_sgpr_kernarg_preload_length 0
		.amdhsa_user_sgpr_kernarg_preload_offset 0
		.amdhsa_user_sgpr_private_segment_size 0
		.amdhsa_uses_dynamic_stack 0
		.amdhsa_enable_private_segment 0
		.amdhsa_system_sgpr_workgroup_id_x 1
		.amdhsa_system_sgpr_workgroup_id_y 0
		.amdhsa_system_sgpr_workgroup_id_z 0
		.amdhsa_system_sgpr_workgroup_info 0
		.amdhsa_system_vgpr_workitem_id 0
		.amdhsa_next_free_vgpr 10
		.amdhsa_next_free_sgpr 14
		.amdhsa_accum_offset 12
		.amdhsa_reserve_vcc 1
		.amdhsa_float_round_mode_32 0
		.amdhsa_float_round_mode_16_64 0
		.amdhsa_float_denorm_mode_32 3
		.amdhsa_float_denorm_mode_16_64 3
		.amdhsa_dx10_clamp 1
		.amdhsa_ieee_mode 1
		.amdhsa_fp16_overflow 0
		.amdhsa_tg_split 0
		.amdhsa_exception_fp_ieee_invalid_op 0
		.amdhsa_exception_fp_denorm_src 0
		.amdhsa_exception_fp_ieee_div_zero 0
		.amdhsa_exception_fp_ieee_overflow 0
		.amdhsa_exception_fp_ieee_underflow 0
		.amdhsa_exception_fp_ieee_inexact 0
		.amdhsa_exception_int_div_zero 0
	.end_amdhsa_kernel
	.section	.text._ZN7rocprim17ROCPRIM_304000_NS6detail16transform_kernelINS1_24wrapped_transform_configINS0_14default_configEfEEfPfS6_NS0_8identityIfEEEEvT1_mT2_T3_,"axG",@progbits,_ZN7rocprim17ROCPRIM_304000_NS6detail16transform_kernelINS1_24wrapped_transform_configINS0_14default_configEfEEfPfS6_NS0_8identityIfEEEEvT1_mT2_T3_,comdat
.Lfunc_end72:
	.size	_ZN7rocprim17ROCPRIM_304000_NS6detail16transform_kernelINS1_24wrapped_transform_configINS0_14default_configEfEEfPfS6_NS0_8identityIfEEEEvT1_mT2_T3_, .Lfunc_end72-_ZN7rocprim17ROCPRIM_304000_NS6detail16transform_kernelINS1_24wrapped_transform_configINS0_14default_configEfEEfPfS6_NS0_8identityIfEEEEvT1_mT2_T3_
                                        ; -- End function
	.section	.AMDGPU.csdata,"",@progbits
; Kernel info:
; codeLenInByte = 512
; NumSgprs: 20
; NumVgprs: 10
; NumAgprs: 0
; TotalNumVgprs: 10
; ScratchSize: 0
; MemoryBound: 0
; FloatMode: 240
; IeeeMode: 1
; LDSByteSize: 0 bytes/workgroup (compile time only)
; SGPRBlocks: 2
; VGPRBlocks: 1
; NumSGPRsForWavesPerEU: 20
; NumVGPRsForWavesPerEU: 10
; AccumOffset: 12
; Occupancy: 8
; WaveLimiterHint : 1
; COMPUTE_PGM_RSRC2:SCRATCH_EN: 0
; COMPUTE_PGM_RSRC2:USER_SGPR: 2
; COMPUTE_PGM_RSRC2:TRAP_HANDLER: 0
; COMPUTE_PGM_RSRC2:TGID_X_EN: 1
; COMPUTE_PGM_RSRC2:TGID_Y_EN: 0
; COMPUTE_PGM_RSRC2:TGID_Z_EN: 0
; COMPUTE_PGM_RSRC2:TIDIG_COMP_CNT: 0
; COMPUTE_PGM_RSRC3_GFX90A:ACCUM_OFFSET: 2
; COMPUTE_PGM_RSRC3_GFX90A:TG_SPLIT: 0
	.section	.text._ZN7rocprim17ROCPRIM_304000_NS6detail18single_scan_kernelILb0ENS1_19wrapped_scan_configINS0_14default_configEfEEPKfPfSt4plusIfEffEEvT1_mT4_T2_T3_,"axG",@progbits,_ZN7rocprim17ROCPRIM_304000_NS6detail18single_scan_kernelILb0ENS1_19wrapped_scan_configINS0_14default_configEfEEPKfPfSt4plusIfEffEEvT1_mT4_T2_T3_,comdat
	.protected	_ZN7rocprim17ROCPRIM_304000_NS6detail18single_scan_kernelILb0ENS1_19wrapped_scan_configINS0_14default_configEfEEPKfPfSt4plusIfEffEEvT1_mT4_T2_T3_ ; -- Begin function _ZN7rocprim17ROCPRIM_304000_NS6detail18single_scan_kernelILb0ENS1_19wrapped_scan_configINS0_14default_configEfEEPKfPfSt4plusIfEffEEvT1_mT4_T2_T3_
	.globl	_ZN7rocprim17ROCPRIM_304000_NS6detail18single_scan_kernelILb0ENS1_19wrapped_scan_configINS0_14default_configEfEEPKfPfSt4plusIfEffEEvT1_mT4_T2_T3_
	.p2align	8
	.type	_ZN7rocprim17ROCPRIM_304000_NS6detail18single_scan_kernelILb0ENS1_19wrapped_scan_configINS0_14default_configEfEEPKfPfSt4plusIfEffEEvT1_mT4_T2_T3_,@function
_ZN7rocprim17ROCPRIM_304000_NS6detail18single_scan_kernelILb0ENS1_19wrapped_scan_configINS0_14default_configEfEEPKfPfSt4plusIfEffEEvT1_mT4_T2_T3_: ; @_ZN7rocprim17ROCPRIM_304000_NS6detail18single_scan_kernelILb0ENS1_19wrapped_scan_configINS0_14default_configEfEEPKfPfSt4plusIfEffEEvT1_mT4_T2_T3_
; %bb.0:
	s_load_dwordx4 s[48:51], s[0:1], 0x0
	v_mov_b32_e32 v27, 0
	v_lshlrev_b32_e32 v26, 2, v0
	s_waitcnt lgkmcnt(0)
	s_load_dword s33, s[48:49], 0x0
	v_lshl_add_u64 v[2:3], s[48:49], 0, v[26:27]
	v_cmp_gt_u32_e64 s[24:25], s50, v0
	s_waitcnt lgkmcnt(0)
	v_mov_b32_e32 v1, s33
	s_and_saveexec_b64 s[2:3], s[24:25]
	s_cbranch_execz .LBB73_2
; %bb.1:
	global_load_dword v1, v[2:3], off
.LBB73_2:
	s_or_b64 exec, exec, s[2:3]
	v_or_b32_e32 v4, 0x100, v0
	v_cmp_gt_u32_e64 s[2:3], s50, v4
	v_mov_b32_e32 v4, s33
	s_and_saveexec_b64 s[4:5], s[2:3]
	s_cbranch_execz .LBB73_4
; %bb.3:
	global_load_dword v4, v[2:3], off offset:1024
.LBB73_4:
	s_or_b64 exec, exec, s[4:5]
	v_or_b32_e32 v5, 0x200, v0
	v_cmp_gt_u32_e64 s[4:5], s50, v5
	v_mov_b32_e32 v5, s33
	s_and_saveexec_b64 s[6:7], s[4:5]
	s_cbranch_execz .LBB73_6
; %bb.5:
	global_load_dword v5, v[2:3], off offset:2048
.LBB73_6:
	;; [unrolled: 9-line block ×3, first 2 shown]
	s_or_b64 exec, exec, s[8:9]
	v_or_b32_e32 v7, 0x400, v0
	v_cmp_gt_u32_e64 s[8:9], s50, v7
	v_mov_b32_e32 v7, s33
	s_and_saveexec_b64 s[10:11], s[8:9]
	s_cbranch_execz .LBB73_10
; %bb.9:
	v_add_co_u32_e32 v8, vcc, 0x1000, v2
	s_nop 1
	v_addc_co_u32_e32 v9, vcc, 0, v3, vcc
	global_load_dword v7, v[8:9], off
.LBB73_10:
	s_or_b64 exec, exec, s[10:11]
	v_or_b32_e32 v8, 0x500, v0
	v_cmp_gt_u32_e64 s[10:11], s50, v8
	v_mov_b32_e32 v8, s33
	s_and_saveexec_b64 s[12:13], s[10:11]
	s_cbranch_execz .LBB73_12
; %bb.11:
	v_add_co_u32_e32 v8, vcc, 0x1000, v2
	s_nop 1
	v_addc_co_u32_e32 v9, vcc, 0, v3, vcc
	global_load_dword v8, v[8:9], off offset:1024
.LBB73_12:
	s_or_b64 exec, exec, s[12:13]
	v_or_b32_e32 v9, 0x600, v0
	v_cmp_gt_u32_e64 s[12:13], s50, v9
	v_mov_b32_e32 v9, s33
	s_and_saveexec_b64 s[14:15], s[12:13]
	s_cbranch_execz .LBB73_14
; %bb.13:
	v_add_co_u32_e32 v10, vcc, 0x1000, v2
	s_nop 1
	v_addc_co_u32_e32 v11, vcc, 0, v3, vcc
	global_load_dword v9, v[10:11], off offset:2048
.LBB73_14:
	s_or_b64 exec, exec, s[14:15]
	v_or_b32_e32 v10, 0x700, v0
	v_cmp_gt_u32_e64 s[14:15], s50, v10
	v_mov_b32_e32 v10, s33
	s_and_saveexec_b64 s[16:17], s[14:15]
	s_cbranch_execz .LBB73_16
; %bb.15:
	v_add_co_u32_e32 v10, vcc, 0x1000, v2
	s_nop 1
	v_addc_co_u32_e32 v11, vcc, 0, v3, vcc
	global_load_dword v10, v[10:11], off offset:3072
.LBB73_16:
	s_or_b64 exec, exec, s[16:17]
	v_or_b32_e32 v11, 0x800, v0
	v_cmp_gt_u32_e64 s[16:17], s50, v11
	v_mov_b32_e32 v11, s33
	s_and_saveexec_b64 s[18:19], s[16:17]
	s_cbranch_execz .LBB73_18
; %bb.17:
	v_add_co_u32_e32 v12, vcc, 0x2000, v2
	s_nop 1
	v_addc_co_u32_e32 v13, vcc, 0, v3, vcc
	global_load_dword v11, v[12:13], off
.LBB73_18:
	s_or_b64 exec, exec, s[18:19]
	v_or_b32_e32 v12, 0x900, v0
	v_cmp_gt_u32_e64 s[18:19], s50, v12
	v_mov_b32_e32 v12, s33
	s_and_saveexec_b64 s[20:21], s[18:19]
	s_cbranch_execz .LBB73_20
; %bb.19:
	v_add_co_u32_e32 v12, vcc, 0x2000, v2
	s_nop 1
	v_addc_co_u32_e32 v13, vcc, 0, v3, vcc
	global_load_dword v12, v[12:13], off offset:1024
.LBB73_20:
	s_or_b64 exec, exec, s[20:21]
	v_or_b32_e32 v13, 0xa00, v0
	v_cmp_gt_u32_e64 s[20:21], s50, v13
	v_mov_b32_e32 v13, s33
	s_and_saveexec_b64 s[22:23], s[20:21]
	s_cbranch_execz .LBB73_22
; %bb.21:
	v_add_co_u32_e32 v14, vcc, 0x2000, v2
	s_nop 1
	v_addc_co_u32_e32 v15, vcc, 0, v3, vcc
	global_load_dword v13, v[14:15], off offset:2048
.LBB73_22:
	s_or_b64 exec, exec, s[22:23]
	v_or_b32_e32 v14, 0xb00, v0
	v_cmp_gt_u32_e64 s[22:23], s50, v14
	v_mov_b32_e32 v14, s33
	s_and_saveexec_b64 s[26:27], s[22:23]
	s_cbranch_execz .LBB73_24
; %bb.23:
	v_add_co_u32_e32 v14, vcc, 0x2000, v2
	s_nop 1
	v_addc_co_u32_e32 v15, vcc, 0, v3, vcc
	global_load_dword v14, v[14:15], off offset:3072
.LBB73_24:
	;; [unrolled: 48-line block ×5, first 2 shown]
	s_or_b64 exec, exec, s[52:53]
	s_movk_i32 s33, 0x5c
	s_waitcnt vmcnt(0)
	ds_write2st64_b32 v26, v1, v4 offset1:4
	ds_write2st64_b32 v26, v5, v6 offset0:8 offset1:12
	ds_write2st64_b32 v26, v7, v8 offset0:16 offset1:20
	;; [unrolled: 1-line block ×11, first 2 shown]
	v_mad_u32_u24 v1, v0, s33, v26
	s_waitcnt lgkmcnt(0)
	s_barrier
	ds_read_b128 v[22:25], v1
	ds_read_b128 v[18:21], v1 offset:16
	ds_read_b128 v[14:17], v1 offset:32
	;; [unrolled: 1-line block ×5, first 2 shown]
	s_waitcnt lgkmcnt(5)
	v_add_f32_e32 v27, v22, v23
	v_add_f32_e32 v27, v27, v24
	v_add_f32_e32 v27, v27, v25
	s_waitcnt lgkmcnt(4)
	v_add_f32_e32 v27, v27, v18
	v_add_f32_e32 v27, v27, v19
	v_add_f32_e32 v27, v27, v20
	v_add_f32_e32 v27, v27, v21
	s_waitcnt lgkmcnt(3)
	v_add_f32_e32 v27, v27, v14
	;; [unrolled: 5-line block ×5, first 2 shown]
	v_add_f32_e32 v27, v27, v3
	v_lshrrev_b32_e32 v28, 3, v0
	v_add_f32_e32 v27, v27, v4
	v_and_b32_e32 v29, 28, v28
	v_add_f32_e32 v27, v27, v5
	v_add_u32_e32 v29, v26, v29
	v_cmp_gt_u32_e32 vcc, 64, v0
	s_barrier
	ds_write_b32 v29, v27
	s_waitcnt lgkmcnt(0)
	s_barrier
	s_and_saveexec_b64 s[52:53], vcc
	s_cbranch_execz .LBB73_50
; %bb.49:
	v_add_lshl_u32 v32, v28, v26, 2
	ds_read2_b32 v[28:29], v32 offset1:1
	ds_read2_b32 v[30:31], v32 offset0:2 offset1:3
	v_mbcnt_lo_u32_b32 v33, -1, 0
	v_mbcnt_hi_u32_b32 v33, -1, v33
	v_and_b32_e32 v34, 15, v33
	s_waitcnt lgkmcnt(1)
	v_add_f32_e32 v35, v28, v29
	s_waitcnt lgkmcnt(0)
	v_add_f32_e32 v35, v35, v30
	v_add_f32_e32 v35, v35, v31
	v_cmp_eq_u32_e32 vcc, 0, v34
	s_nop 0
	v_mov_b32_dpp v36, v35 row_shr:1 row_mask:0xf bank_mask:0xf
	v_add_f32_e32 v36, v35, v36
	v_cndmask_b32_e32 v35, v36, v35, vcc
	v_cmp_lt_u32_e32 vcc, 1, v34
	s_nop 0
	v_mov_b32_dpp v36, v35 row_shr:2 row_mask:0xf bank_mask:0xf
	v_add_f32_e32 v36, v35, v36
	v_cndmask_b32_e32 v35, v35, v36, vcc
	v_cmp_lt_u32_e32 vcc, 3, v34
	;; [unrolled: 5-line block ×3, first 2 shown]
	s_nop 0
	v_mov_b32_dpp v36, v35 row_shr:8 row_mask:0xf bank_mask:0xf
	v_add_f32_e32 v36, v35, v36
	v_cndmask_b32_e32 v34, v35, v36, vcc
	v_and_b32_e32 v36, 16, v33
	v_cmp_eq_u32_e32 vcc, 0, v36
	v_mov_b32_dpp v35, v34 row_bcast:15 row_mask:0xf bank_mask:0xf
	v_add_f32_e32 v35, v34, v35
	v_cndmask_b32_e32 v34, v35, v34, vcc
	v_cmp_lt_u32_e32 vcc, 31, v33
	v_and_b32_e32 v36, 64, v33
	v_mov_b32_dpp v35, v34 row_bcast:31 row_mask:0xf bank_mask:0xf
	v_add_f32_e32 v35, v34, v35
	v_cndmask_b32_e32 v34, v34, v35, vcc
	v_add_u32_e32 v35, -1, v33
	v_cmp_lt_i32_e32 vcc, v35, v36
	s_nop 1
	v_cndmask_b32_e32 v33, v35, v33, vcc
	v_lshlrev_b32_e32 v33, 2, v33
	ds_bpermute_b32 v33, v33, v34
	v_cmp_eq_u32_e32 vcc, 0, v0
	s_waitcnt lgkmcnt(0)
	v_add_f32_e32 v28, v28, v33
	v_cndmask_b32_e32 v28, v28, v27, vcc
	v_add_f32_e32 v29, v29, v28
	ds_write2_b32 v32, v28, v29 offset1:1
	v_add_f32_e32 v28, v30, v29
	v_add_f32_e32 v29, v31, v28
	ds_write2_b32 v32, v28, v29 offset0:2 offset1:3
.LBB73_50:
	s_or_b64 exec, exec, s[52:53]
	v_cmp_eq_u32_e32 vcc, 0, v0
	v_cmp_ne_u32_e64 s[52:53], 0, v0
	s_waitcnt lgkmcnt(0)
	s_barrier
	s_and_saveexec_b64 s[54:55], s[52:53]
	s_cbranch_execz .LBB73_52
; %bb.51:
	v_add_u32_e32 v27, -1, v0
	v_lshrrev_b32_e32 v28, 5, v27
	v_add_lshl_u32 v27, v28, v27, 2
	ds_read_b32 v27, v27
.LBB73_52:
	s_or_b64 exec, exec, s[54:55]
	s_waitcnt lgkmcnt(0)
	v_add_f32_e32 v27, v22, v27
	v_cndmask_b32_e32 v22, v27, v22, vcc
	v_add_f32_e32 v23, v23, v22
	v_add_f32_e32 v24, v24, v23
	;; [unrolled: 1-line block ×22, first 2 shown]
	s_movk_i32 s33, 0xffa4
	v_add_f32_e32 v5, v5, v4
	v_mad_i32_i24 v0, v0, s33, v1
	s_barrier
	ds_write_b128 v1, v[22:25]
	ds_write_b128 v1, v[18:21] offset:16
	ds_write_b128 v1, v[14:17] offset:32
	;; [unrolled: 1-line block ×5, first 2 shown]
	s_waitcnt lgkmcnt(0)
	s_barrier
	ds_read2st64_b32 v[22:23], v0 offset0:4 offset1:8
	ds_read2st64_b32 v[20:21], v0 offset0:12 offset1:20
	;; [unrolled: 1-line block ×10, first 2 shown]
	ds_read_b32 v24, v26 offset:20480
	ds_read2st64_b32 v[0:1], v0 offset0:88 offset1:92
	s_load_dwordx2 s[0:1], s[0:1], 0x18
	v_mov_b32_e32 v27, 0
	s_waitcnt lgkmcnt(0)
	v_lshl_add_u64 v[2:3], s[0:1], 0, v[26:27]
	s_and_saveexec_b64 s[0:1], s[24:25]
	s_cbranch_execnz .LBB73_77
; %bb.53:
	s_or_b64 exec, exec, s[0:1]
	s_and_saveexec_b64 s[0:1], s[2:3]
	s_cbranch_execnz .LBB73_78
.LBB73_54:
	s_or_b64 exec, exec, s[0:1]
	s_and_saveexec_b64 s[0:1], s[4:5]
	s_cbranch_execnz .LBB73_79
.LBB73_55:
	s_or_b64 exec, exec, s[0:1]
	s_and_saveexec_b64 s[0:1], s[6:7]
	s_cbranch_execnz .LBB73_80
.LBB73_56:
	s_or_b64 exec, exec, s[0:1]
	s_and_saveexec_b64 s[0:1], s[8:9]
	s_cbranch_execnz .LBB73_81
.LBB73_57:
	s_or_b64 exec, exec, s[0:1]
	s_and_saveexec_b64 s[0:1], s[10:11]
	s_cbranch_execnz .LBB73_82
.LBB73_58:
	s_or_b64 exec, exec, s[0:1]
	s_and_saveexec_b64 s[0:1], s[12:13]
	s_cbranch_execnz .LBB73_83
.LBB73_59:
	s_or_b64 exec, exec, s[0:1]
	s_and_saveexec_b64 s[0:1], s[14:15]
	s_cbranch_execnz .LBB73_84
.LBB73_60:
	s_or_b64 exec, exec, s[0:1]
	s_and_saveexec_b64 s[0:1], s[16:17]
	s_cbranch_execnz .LBB73_85
.LBB73_61:
	s_or_b64 exec, exec, s[0:1]
	s_and_saveexec_b64 s[0:1], s[18:19]
	s_cbranch_execnz .LBB73_86
.LBB73_62:
	s_or_b64 exec, exec, s[0:1]
	s_and_saveexec_b64 s[0:1], s[20:21]
	s_cbranch_execnz .LBB73_87
.LBB73_63:
	s_or_b64 exec, exec, s[0:1]
	s_and_saveexec_b64 s[0:1], s[22:23]
	s_cbranch_execnz .LBB73_88
.LBB73_64:
	s_or_b64 exec, exec, s[0:1]
	s_and_saveexec_b64 s[0:1], s[26:27]
	s_cbranch_execnz .LBB73_89
.LBB73_65:
	s_or_b64 exec, exec, s[0:1]
	s_and_saveexec_b64 s[0:1], s[28:29]
	s_cbranch_execnz .LBB73_90
.LBB73_66:
	s_or_b64 exec, exec, s[0:1]
	s_and_saveexec_b64 s[0:1], s[30:31]
	s_cbranch_execnz .LBB73_91
.LBB73_67:
	s_or_b64 exec, exec, s[0:1]
	s_and_saveexec_b64 s[0:1], s[34:35]
	s_cbranch_execnz .LBB73_92
.LBB73_68:
	s_or_b64 exec, exec, s[0:1]
	s_and_saveexec_b64 s[0:1], s[36:37]
	s_cbranch_execnz .LBB73_93
.LBB73_69:
	s_or_b64 exec, exec, s[0:1]
	s_and_saveexec_b64 s[0:1], s[38:39]
	s_cbranch_execnz .LBB73_94
.LBB73_70:
	s_or_b64 exec, exec, s[0:1]
	s_and_saveexec_b64 s[0:1], s[40:41]
	s_cbranch_execnz .LBB73_95
.LBB73_71:
	s_or_b64 exec, exec, s[0:1]
	s_and_saveexec_b64 s[0:1], s[42:43]
	s_cbranch_execnz .LBB73_96
.LBB73_72:
	s_or_b64 exec, exec, s[0:1]
	s_and_saveexec_b64 s[0:1], s[44:45]
	s_cbranch_execnz .LBB73_97
.LBB73_73:
	s_or_b64 exec, exec, s[0:1]
	s_and_saveexec_b64 s[0:1], s[46:47]
	s_cbranch_execnz .LBB73_98
.LBB73_74:
	s_or_b64 exec, exec, s[0:1]
	s_and_saveexec_b64 s[0:1], s[48:49]
	s_cbranch_execnz .LBB73_99
.LBB73_75:
	s_or_b64 exec, exec, s[0:1]
	s_and_saveexec_b64 s[0:1], s[50:51]
	s_cbranch_execnz .LBB73_100
.LBB73_76:
	s_endpgm
.LBB73_77:
	ds_read_b32 v25, v26
	s_waitcnt lgkmcnt(0)
	global_store_dword v[2:3], v25, off
	s_or_b64 exec, exec, s[0:1]
	s_and_saveexec_b64 s[0:1], s[2:3]
	s_cbranch_execz .LBB73_54
.LBB73_78:
	global_store_dword v[2:3], v22, off offset:1024
	s_or_b64 exec, exec, s[0:1]
	s_and_saveexec_b64 s[0:1], s[4:5]
	s_cbranch_execz .LBB73_55
.LBB73_79:
	global_store_dword v[2:3], v23, off offset:2048
	s_or_b64 exec, exec, s[0:1]
	s_and_saveexec_b64 s[0:1], s[6:7]
	s_cbranch_execz .LBB73_56
.LBB73_80:
	global_store_dword v[2:3], v20, off offset:3072
	s_or_b64 exec, exec, s[0:1]
	s_and_saveexec_b64 s[0:1], s[8:9]
	s_cbranch_execz .LBB73_57
.LBB73_81:
	v_add_co_u32_e32 v22, vcc, 0x1000, v2
	s_nop 1
	v_addc_co_u32_e32 v23, vcc, 0, v3, vcc
	global_store_dword v[22:23], v16, off
	s_or_b64 exec, exec, s[0:1]
	s_and_saveexec_b64 s[0:1], s[10:11]
	s_cbranch_execz .LBB73_58
.LBB73_82:
	v_add_co_u32_e32 v22, vcc, 0x1000, v2
	s_nop 1
	v_addc_co_u32_e32 v23, vcc, 0, v3, vcc
	global_store_dword v[22:23], v21, off offset:1024
	s_or_b64 exec, exec, s[0:1]
	s_and_saveexec_b64 s[0:1], s[12:13]
	s_cbranch_execz .LBB73_59
.LBB73_83:
	v_add_co_u32_e32 v20, vcc, 0x1000, v2
	s_nop 1
	v_addc_co_u32_e32 v21, vcc, 0, v3, vcc
	global_store_dword v[20:21], v18, off offset:2048
	s_or_b64 exec, exec, s[0:1]
	s_and_saveexec_b64 s[0:1], s[14:15]
	s_cbranch_execz .LBB73_60
.LBB73_84:
	v_add_co_u32_e32 v20, vcc, 0x1000, v2
	s_nop 1
	v_addc_co_u32_e32 v21, vcc, 0, v3, vcc
	global_store_dword v[20:21], v19, off offset:3072
	s_or_b64 exec, exec, s[0:1]
	s_and_saveexec_b64 s[0:1], s[16:17]
	s_cbranch_execz .LBB73_61
.LBB73_85:
	v_add_co_u32_e32 v18, vcc, 0x2000, v2
	s_nop 1
	v_addc_co_u32_e32 v19, vcc, 0, v3, vcc
	global_store_dword v[18:19], v17, off
	s_or_b64 exec, exec, s[0:1]
	s_and_saveexec_b64 s[0:1], s[18:19]
	s_cbranch_execz .LBB73_62
.LBB73_86:
	v_add_co_u32_e32 v16, vcc, 0x2000, v2
	s_nop 1
	v_addc_co_u32_e32 v17, vcc, 0, v3, vcc
	global_store_dword v[16:17], v14, off offset:1024
	s_or_b64 exec, exec, s[0:1]
	s_and_saveexec_b64 s[0:1], s[20:21]
	s_cbranch_execz .LBB73_63
.LBB73_87:
	v_add_co_u32_e32 v16, vcc, 0x2000, v2
	s_nop 1
	v_addc_co_u32_e32 v17, vcc, 0, v3, vcc
	global_store_dword v[16:17], v15, off offset:2048
	s_or_b64 exec, exec, s[0:1]
	s_and_saveexec_b64 s[0:1], s[22:23]
	s_cbranch_execz .LBB73_64
.LBB73_88:
	v_add_co_u32_e32 v14, vcc, 0x2000, v2
	s_nop 1
	v_addc_co_u32_e32 v15, vcc, 0, v3, vcc
	global_store_dword v[14:15], v12, off offset:3072
	s_or_b64 exec, exec, s[0:1]
	s_and_saveexec_b64 s[0:1], s[26:27]
	s_cbranch_execz .LBB73_65
.LBB73_89:
	v_add_co_u32_e32 v14, vcc, 0x3000, v2
	s_nop 1
	v_addc_co_u32_e32 v15, vcc, 0, v3, vcc
	global_store_dword v[14:15], v8, off
	s_or_b64 exec, exec, s[0:1]
	s_and_saveexec_b64 s[0:1], s[28:29]
	s_cbranch_execz .LBB73_66
.LBB73_90:
	v_add_co_u32_e32 v14, vcc, 0x3000, v2
	s_nop 1
	v_addc_co_u32_e32 v15, vcc, 0, v3, vcc
	global_store_dword v[14:15], v13, off offset:1024
	s_or_b64 exec, exec, s[0:1]
	s_and_saveexec_b64 s[0:1], s[30:31]
	s_cbranch_execz .LBB73_67
.LBB73_91:
	v_add_co_u32_e32 v12, vcc, 0x3000, v2
	s_nop 1
	v_addc_co_u32_e32 v13, vcc, 0, v3, vcc
	global_store_dword v[12:13], v10, off offset:2048
	s_or_b64 exec, exec, s[0:1]
	s_and_saveexec_b64 s[0:1], s[34:35]
	s_cbranch_execz .LBB73_68
.LBB73_92:
	v_add_co_u32_e32 v12, vcc, 0x3000, v2
	s_nop 1
	v_addc_co_u32_e32 v13, vcc, 0, v3, vcc
	global_store_dword v[12:13], v11, off offset:3072
	s_or_b64 exec, exec, s[0:1]
	s_and_saveexec_b64 s[0:1], s[36:37]
	s_cbranch_execz .LBB73_69
.LBB73_93:
	v_add_co_u32_e32 v10, vcc, 0x4000, v2
	s_nop 1
	v_addc_co_u32_e32 v11, vcc, 0, v3, vcc
	global_store_dword v[10:11], v9, off
	s_or_b64 exec, exec, s[0:1]
	s_and_saveexec_b64 s[0:1], s[38:39]
	s_cbranch_execz .LBB73_70
.LBB73_94:
	v_add_co_u32_e32 v8, vcc, 0x4000, v2
	s_nop 1
	v_addc_co_u32_e32 v9, vcc, 0, v3, vcc
	global_store_dword v[8:9], v6, off offset:1024
	s_or_b64 exec, exec, s[0:1]
	s_and_saveexec_b64 s[0:1], s[40:41]
	s_cbranch_execz .LBB73_71
.LBB73_95:
	v_add_co_u32_e32 v8, vcc, 0x4000, v2
	s_nop 1
	v_addc_co_u32_e32 v9, vcc, 0, v3, vcc
	global_store_dword v[8:9], v7, off offset:2048
	s_or_b64 exec, exec, s[0:1]
	s_and_saveexec_b64 s[0:1], s[42:43]
	s_cbranch_execz .LBB73_72
.LBB73_96:
	v_add_co_u32_e32 v6, vcc, 0x4000, v2
	s_nop 1
	v_addc_co_u32_e32 v7, vcc, 0, v3, vcc
	global_store_dword v[6:7], v4, off offset:3072
	s_or_b64 exec, exec, s[0:1]
	s_and_saveexec_b64 s[0:1], s[44:45]
	s_cbranch_execz .LBB73_73
.LBB73_97:
	v_add_co_u32_e32 v6, vcc, 0x5000, v2
	s_nop 1
	v_addc_co_u32_e32 v7, vcc, 0, v3, vcc
	global_store_dword v[6:7], v24, off
	s_or_b64 exec, exec, s[0:1]
	s_and_saveexec_b64 s[0:1], s[46:47]
	s_cbranch_execz .LBB73_74
.LBB73_98:
	v_add_co_u32_e32 v6, vcc, 0x5000, v2
	s_nop 1
	v_addc_co_u32_e32 v7, vcc, 0, v3, vcc
	global_store_dword v[6:7], v5, off offset:1024
	s_or_b64 exec, exec, s[0:1]
	s_and_saveexec_b64 s[0:1], s[48:49]
	s_cbranch_execz .LBB73_75
.LBB73_99:
	v_add_co_u32_e32 v4, vcc, 0x5000, v2
	s_nop 1
	v_addc_co_u32_e32 v5, vcc, 0, v3, vcc
	global_store_dword v[4:5], v0, off offset:2048
	s_or_b64 exec, exec, s[0:1]
	s_and_saveexec_b64 s[0:1], s[50:51]
	s_cbranch_execz .LBB73_76
.LBB73_100:
	v_add_co_u32_e32 v2, vcc, 0x5000, v2
	s_nop 1
	v_addc_co_u32_e32 v3, vcc, 0, v3, vcc
	global_store_dword v[2:3], v1, off offset:3072
	s_endpgm
	.section	.rodata,"a",@progbits
	.p2align	6, 0x0
	.amdhsa_kernel _ZN7rocprim17ROCPRIM_304000_NS6detail18single_scan_kernelILb0ENS1_19wrapped_scan_configINS0_14default_configEfEEPKfPfSt4plusIfEffEEvT1_mT4_T2_T3_
		.amdhsa_group_segment_fixed_size 24576
		.amdhsa_private_segment_fixed_size 0
		.amdhsa_kernarg_size 36
		.amdhsa_user_sgpr_count 2
		.amdhsa_user_sgpr_dispatch_ptr 0
		.amdhsa_user_sgpr_queue_ptr 0
		.amdhsa_user_sgpr_kernarg_segment_ptr 1
		.amdhsa_user_sgpr_dispatch_id 0
		.amdhsa_user_sgpr_kernarg_preload_length 0
		.amdhsa_user_sgpr_kernarg_preload_offset 0
		.amdhsa_user_sgpr_private_segment_size 0
		.amdhsa_uses_dynamic_stack 0
		.amdhsa_enable_private_segment 0
		.amdhsa_system_sgpr_workgroup_id_x 1
		.amdhsa_system_sgpr_workgroup_id_y 0
		.amdhsa_system_sgpr_workgroup_id_z 0
		.amdhsa_system_sgpr_workgroup_info 0
		.amdhsa_system_vgpr_workitem_id 0
		.amdhsa_next_free_vgpr 37
		.amdhsa_next_free_sgpr 56
		.amdhsa_accum_offset 40
		.amdhsa_reserve_vcc 1
		.amdhsa_float_round_mode_32 0
		.amdhsa_float_round_mode_16_64 0
		.amdhsa_float_denorm_mode_32 3
		.amdhsa_float_denorm_mode_16_64 3
		.amdhsa_dx10_clamp 1
		.amdhsa_ieee_mode 1
		.amdhsa_fp16_overflow 0
		.amdhsa_tg_split 0
		.amdhsa_exception_fp_ieee_invalid_op 0
		.amdhsa_exception_fp_denorm_src 0
		.amdhsa_exception_fp_ieee_div_zero 0
		.amdhsa_exception_fp_ieee_overflow 0
		.amdhsa_exception_fp_ieee_underflow 0
		.amdhsa_exception_fp_ieee_inexact 0
		.amdhsa_exception_int_div_zero 0
	.end_amdhsa_kernel
	.section	.text._ZN7rocprim17ROCPRIM_304000_NS6detail18single_scan_kernelILb0ENS1_19wrapped_scan_configINS0_14default_configEfEEPKfPfSt4plusIfEffEEvT1_mT4_T2_T3_,"axG",@progbits,_ZN7rocprim17ROCPRIM_304000_NS6detail18single_scan_kernelILb0ENS1_19wrapped_scan_configINS0_14default_configEfEEPKfPfSt4plusIfEffEEvT1_mT4_T2_T3_,comdat
.Lfunc_end73:
	.size	_ZN7rocprim17ROCPRIM_304000_NS6detail18single_scan_kernelILb0ENS1_19wrapped_scan_configINS0_14default_configEfEEPKfPfSt4plusIfEffEEvT1_mT4_T2_T3_, .Lfunc_end73-_ZN7rocprim17ROCPRIM_304000_NS6detail18single_scan_kernelILb0ENS1_19wrapped_scan_configINS0_14default_configEfEEPKfPfSt4plusIfEffEEvT1_mT4_T2_T3_
                                        ; -- End function
	.section	.AMDGPU.csdata,"",@progbits
; Kernel info:
; codeLenInByte = 3368
; NumSgprs: 62
; NumVgprs: 37
; NumAgprs: 0
; TotalNumVgprs: 37
; ScratchSize: 0
; MemoryBound: 0
; FloatMode: 240
; IeeeMode: 1
; LDSByteSize: 24576 bytes/workgroup (compile time only)
; SGPRBlocks: 7
; VGPRBlocks: 4
; NumSGPRsForWavesPerEU: 62
; NumVGPRsForWavesPerEU: 37
; AccumOffset: 40
; Occupancy: 2
; WaveLimiterHint : 0
; COMPUTE_PGM_RSRC2:SCRATCH_EN: 0
; COMPUTE_PGM_RSRC2:USER_SGPR: 2
; COMPUTE_PGM_RSRC2:TRAP_HANDLER: 0
; COMPUTE_PGM_RSRC2:TGID_X_EN: 1
; COMPUTE_PGM_RSRC2:TGID_Y_EN: 0
; COMPUTE_PGM_RSRC2:TGID_Z_EN: 0
; COMPUTE_PGM_RSRC2:TIDIG_COMP_CNT: 0
; COMPUTE_PGM_RSRC3_GFX90A:ACCUM_OFFSET: 9
; COMPUTE_PGM_RSRC3_GFX90A:TG_SPLIT: 0
	.section	.text._ZN2at6native32tensor_kernel_scan_innermost_dimIfSt4plusIfEEEvPT_PKS4_jjjS4_T0_,"axG",@progbits,_ZN2at6native32tensor_kernel_scan_innermost_dimIfSt4plusIfEEEvPT_PKS4_jjjS4_T0_,comdat
	.protected	_ZN2at6native32tensor_kernel_scan_innermost_dimIfSt4plusIfEEEvPT_PKS4_jjjS4_T0_ ; -- Begin function _ZN2at6native32tensor_kernel_scan_innermost_dimIfSt4plusIfEEEvPT_PKS4_jjjS4_T0_
	.globl	_ZN2at6native32tensor_kernel_scan_innermost_dimIfSt4plusIfEEEvPT_PKS4_jjjS4_T0_
	.p2align	8
	.type	_ZN2at6native32tensor_kernel_scan_innermost_dimIfSt4plusIfEEEvPT_PKS4_jjjS4_T0_,@function
_ZN2at6native32tensor_kernel_scan_innermost_dimIfSt4plusIfEEEvPT_PKS4_jjjS4_T0_: ; @_ZN2at6native32tensor_kernel_scan_innermost_dimIfSt4plusIfEEEvPT_PKS4_jjjS4_T0_
; %bb.0:
	s_load_dwordx8 s[12:19], s[0:1], 0x0
	v_bfe_u32 v2, v0, 10, 10
	s_waitcnt lgkmcnt(0)
	s_lshl_b32 s3, 2, s18
	v_mul_lo_u32 v1, s3, v2
	s_mul_hi_u32 s4, s16, s17
	s_mov_b32 s20, s16
	v_lshl_add_u32 v18, v1, 2, 0
	s_cmp_lg_u32 s4, 0
	s_mov_b64 s[4:5], -1
	s_cbranch_scc1 .LBB74_26
; %bb.1:
	s_load_dword s6, s[0:1], 0x34
	s_add_u32 s4, s0, 40
	s_addc_u32 s5, s1, 0
	s_waitcnt lgkmcnt(0)
	s_lshr_b32 s6, s6, 16
	s_mul_i32 s21, s2, s6
	s_cmp_ge_u32 s21, s16
	s_cbranch_scc1 .LBB74_25
; %bb.2:
	s_load_dword s27, s[4:5], 0x0
	s_lshl_b32 s26, 1, s18
	s_cmp_lg_u32 s17, 0
	v_and_b32_e32 v1, 0x3ff, v0
	s_cselect_b64 s[4:5], -1, 0
	v_lshl_add_u32 v3, v1, 2, v18
	v_add_u32_e32 v13, -4, v18
	v_cndmask_b32_e64 v4, 0, 1, s[4:5]
	v_lshl_add_u32 v12, s26, 2, v3
	v_cmp_eq_u32_e64 s[8:9], 0, v1
	v_lshl_add_u32 v14, s3, 2, v13
	s_waitcnt lgkmcnt(0)
	s_mul_i32 s27, s27, s6
	s_add_i32 s28, s18, 1
	v_cmp_ne_u32_e64 s[4:5], 1, v4
	v_mov_b32_e32 v5, 0
	s_branch .LBB74_4
.LBB74_3:                               ;   in Loop: Header=BB74_4 Depth=1
	s_add_i32 s21, s21, s27
	s_cmp_ge_u32 s21, s16
	s_cbranch_scc1 .LBB74_25
.LBB74_4:                               ; =>This Loop Header: Depth=1
                                        ;     Child Loop BB74_7 Depth 2
                                        ;       Child Loop BB74_16 Depth 3
	s_and_b64 vcc, exec, s[4:5]
	s_cbranch_vccnz .LBB74_3
; %bb.5:                                ;   in Loop: Header=BB74_4 Depth=1
	v_add_u32_e32 v10, s21, v2
	v_mul_lo_u32 v4, v10, s17
	v_lshlrev_b64 v[8:9], 2, v[4:5]
	v_lshl_add_u64 v[6:7], s[14:15], 0, v[8:9]
	v_lshl_add_u64 v[8:9], s[12:13], 0, v[8:9]
	v_cmp_gt_u32_e32 vcc, s16, v10
	v_cmp_le_u32_e64 s[6:7], s16, v10
	s_mov_b32 s29, 0
	v_mov_b32_e32 v15, s19
	s_branch .LBB74_7
.LBB74_6:                               ;   in Loop: Header=BB74_7 Depth=2
	s_or_b64 exec, exec, s[22:23]
	ds_read_b32 v15, v14
	s_add_i32 s29, s29, s3
	s_cmp_ge_u32 s29, s17
	s_waitcnt lgkmcnt(0)
	s_barrier
	s_cbranch_scc1 .LBB74_3
.LBB74_7:                               ;   Parent Loop BB74_4 Depth=1
                                        ; =>  This Loop Header: Depth=2
                                        ;       Child Loop BB74_16 Depth 3
	v_add_u32_e32 v4, s29, v1
	v_add_u32_e32 v10, s26, v4
	s_and_saveexec_b64 s[22:23], vcc
	s_cbranch_execz .LBB74_14
; %bb.8:                                ;   in Loop: Header=BB74_7 Depth=2
	v_cmp_gt_u32_e64 s[10:11], s17, v4
	v_mov_b32_e32 v11, s19
	s_and_saveexec_b64 s[24:25], s[10:11]
	s_cbranch_execz .LBB74_10
; %bb.9:                                ;   in Loop: Header=BB74_7 Depth=2
	v_lshl_add_u64 v[16:17], v[4:5], 2, v[6:7]
	global_load_dword v11, v[16:17], off
.LBB74_10:                              ;   in Loop: Header=BB74_7 Depth=2
	s_or_b64 exec, exec, s[24:25]
	s_waitcnt vmcnt(0)
	ds_write_b32 v3, v11
	v_cmp_gt_u32_e64 s[10:11], s17, v10
	v_mov_b32_e32 v11, s19
	s_and_saveexec_b64 s[24:25], s[10:11]
	s_cbranch_execz .LBB74_12
; %bb.11:                               ;   in Loop: Header=BB74_7 Depth=2
	v_mov_b32_e32 v11, v5
	v_lshl_add_u64 v[16:17], v[10:11], 2, v[6:7]
	global_load_dword v11, v[16:17], off
.LBB74_12:                              ;   in Loop: Header=BB74_7 Depth=2
	s_or_b64 exec, exec, s[24:25]
	s_waitcnt vmcnt(0)
	ds_write_b32 v12, v11
	s_and_b64 exec, exec, s[8:9]
	s_cbranch_execz .LBB74_14
; %bb.13:                               ;   in Loop: Header=BB74_7 Depth=2
	ds_read_b32 v11, v18
	s_waitcnt lgkmcnt(0)
	v_add_f32_e32 v11, v15, v11
	ds_write_b32 v18, v11
.LBB74_14:                              ;   in Loop: Header=BB74_7 Depth=2
	s_or_b64 exec, exec, s[22:23]
	s_mov_b64 s[22:23], 0
	v_mov_b32_e32 v11, 0
	s_waitcnt lgkmcnt(0)
	s_barrier
	s_branch .LBB74_16
.LBB74_15:                              ;   in Loop: Header=BB74_16 Depth=3
	s_or_b64 exec, exec, s[10:11]
	v_cmp_eq_u32_e64 s[10:11], s28, v11
	s_or_b64 s[22:23], s[10:11], s[22:23]
	s_waitcnt lgkmcnt(0)
	s_barrier
	s_andn2_b64 exec, exec, s[22:23]
	s_cbranch_execz .LBB74_20
.LBB74_16:                              ;   Parent Loop BB74_4 Depth=1
                                        ;     Parent Loop BB74_7 Depth=2
                                        ; =>    This Inner Loop Header: Depth=3
	v_add_u32_e32 v15, 1, v11
	s_and_saveexec_b64 s[10:11], s[6:7]
	s_xor_b64 s[10:11], exec, s[10:11]
; %bb.17:                               ;   in Loop: Header=BB74_16 Depth=3
	v_add_u32_e32 v11, 1, v11
                                        ; implicit-def: $vgpr15
; %bb.18:                               ;   in Loop: Header=BB74_16 Depth=3
	s_andn2_saveexec_b64 s[10:11], s[10:11]
	s_cbranch_execz .LBB74_15
; %bb.19:                               ;   in Loop: Header=BB74_16 Depth=3
	v_lshlrev_b32_e64 v16, v11, 1
	v_lshrrev_b32_e32 v17, v11, v1
	v_bfm_b32 v11, v11, 0
	v_lshl_or_b32 v16, v17, v15, v16
	v_and_b32_e32 v11, v11, v1
	v_lshlrev_b32_e32 v16, 2, v16
	v_lshlrev_b32_e32 v11, 2, v11
	v_add3_u32 v11, v18, v16, v11
	v_add_u32_e32 v16, v13, v16
	ds_read_b32 v17, v11
	ds_read_b32 v16, v16
	s_waitcnt lgkmcnt(0)
	v_add_f32_e32 v16, v17, v16
	ds_write_b32 v11, v16
	v_mov_b32_e32 v11, v15
	s_branch .LBB74_15
.LBB74_20:                              ;   in Loop: Header=BB74_7 Depth=2
	s_or_b64 exec, exec, s[22:23]
	s_and_saveexec_b64 s[22:23], vcc
	s_cbranch_execz .LBB74_6
; %bb.21:                               ;   in Loop: Header=BB74_7 Depth=2
	v_cmp_gt_u32_e64 s[10:11], s17, v4
	s_and_saveexec_b64 s[24:25], s[10:11]
	s_cbranch_execz .LBB74_23
; %bb.22:                               ;   in Loop: Header=BB74_7 Depth=2
	ds_read_b32 v11, v3
	v_lshl_add_u64 v[16:17], v[4:5], 2, v[8:9]
	s_waitcnt lgkmcnt(0)
	global_store_dword v[16:17], v11, off
.LBB74_23:                              ;   in Loop: Header=BB74_7 Depth=2
	s_or_b64 exec, exec, s[24:25]
	v_cmp_gt_u32_e64 s[10:11], s17, v10
	s_and_b64 exec, exec, s[10:11]
	s_cbranch_execz .LBB74_6
; %bb.24:                               ;   in Loop: Header=BB74_7 Depth=2
	ds_read_b32 v4, v12
	v_mov_b32_e32 v11, v5
	v_lshl_add_u64 v[10:11], v[10:11], 2, v[8:9]
	s_waitcnt lgkmcnt(0)
	global_store_dword v[10:11], v4, off
	s_branch .LBB74_6
.LBB74_25:
	s_mov_b64 s[4:5], 0
.LBB74_26:
	s_andn2_b64 vcc, exec, s[4:5]
	s_cbranch_vccnz .LBB74_53
; %bb.27:
	s_load_dword s3, s[0:1], 0x34
	s_add_u32 s4, s0, 40
	s_mov_b32 s21, 0
	s_addc_u32 s5, s1, 0
	v_mov_b64_e32 v[4:5], s[20:21]
	s_waitcnt lgkmcnt(0)
	s_lshr_b32 s0, s3, 16
	s_mul_hi_u32 s9, s0, s2
	s_mul_i32 s8, s0, s2
	v_cmp_ge_u64_e32 vcc, s[8:9], v[4:5]
	s_cbranch_vccnz .LBB74_53
; %bb.28:
	s_lshl_b32 s10, 1, s18
	s_load_dword s4, s[4:5], 0x0
	s_and_b32 s6, 0xffff, s0
	s_ashr_i32 s11, s10, 31
	s_cmp_lg_u32 s17, 0
	s_mov_b32 s22, s17
	v_and_b32_e32 v0, 0x3ff, v0
	s_cselect_b64 s[2:3], -1, 0
	s_lshl_b64 s[16:17], s[10:11], 1
	v_mov_b32_e32 v3, 0
	v_lshl_add_u32 v19, v0, 2, v18
	s_lshl_b32 s5, s16, 2
	v_cndmask_b32_e64 v4, 0, 1, s[2:3]
	s_mov_b32 s23, s21
	v_mov_b32_e32 v1, v3
	v_lshl_add_u32 v20, s10, 2, v19
	v_cmp_eq_u32_e64 s[0:1], 0, v0
	v_add3_u32 v21, v18, s5, -4
	s_waitcnt lgkmcnt(0)
	s_mul_i32 s33, s4, s6
	s_add_i32 s18, s18, 1
	v_cmp_ne_u32_e64 s[2:3], 1, v4
	v_mov_b64_e32 v[4:5], s[20:21]
	s_branch .LBB74_30
.LBB74_29:                              ;   in Loop: Header=BB74_30 Depth=1
	s_add_u32 s8, s8, s33
	s_addc_u32 s9, s9, 0
	v_cmp_ge_u64_e32 vcc, s[8:9], v[4:5]
	s_cbranch_vccnz .LBB74_53
.LBB74_30:                              ; =>This Loop Header: Depth=1
                                        ;     Child Loop BB74_33 Depth 2
                                        ;       Child Loop BB74_43 Depth 3
	s_and_b64 vcc, exec, s[2:3]
	s_cbranch_vccnz .LBB74_29
; %bb.31:                               ;   in Loop: Header=BB74_30 Depth=1
	v_lshl_add_u64 v[10:11], s[8:9], 0, v[2:3]
	v_mad_u64_u32 v[6:7], s[4:5], v10, s22, 0
	v_mov_b32_e32 v8, v7
	v_mad_u64_u32 v[8:9], s[4:5], v11, s22, v[8:9]
	v_mov_b32_e32 v7, v8
	v_lshlrev_b64 v[8:9], 2, v[6:7]
	v_lshl_add_u64 v[6:7], s[14:15], 0, v[8:9]
	v_lshl_add_u64 v[8:9], s[12:13], 0, v[8:9]
	v_cmp_gt_u64_e64 s[4:5], s[20:21], v[10:11]
	v_cmp_le_u64_e64 s[6:7], s[20:21], v[10:11]
	s_mov_b64 s[24:25], 0
	v_mov_b32_e32 v14, s19
	s_branch .LBB74_33
.LBB74_32:                              ;   in Loop: Header=BB74_33 Depth=2
	s_or_b64 exec, exec, s[26:27]
	ds_read_b32 v14, v21
	s_add_u32 s24, s24, s16
	s_addc_u32 s25, s25, s17
	v_mov_b64_e32 v[10:11], s[22:23]
	v_cmp_ge_u64_e32 vcc, s[24:25], v[10:11]
	s_waitcnt lgkmcnt(0)
	s_barrier
	s_cbranch_vccnz .LBB74_29
.LBB74_33:                              ;   Parent Loop BB74_30 Depth=1
                                        ; =>  This Loop Header: Depth=2
                                        ;       Child Loop BB74_43 Depth 3
	v_lshl_add_u64 v[12:13], s[24:25], 0, v[0:1]
	v_lshl_add_u64 v[10:11], v[12:13], 0, s[10:11]
	s_and_saveexec_b64 s[26:27], s[4:5]
	s_cbranch_execz .LBB74_40
; %bb.34:                               ;   in Loop: Header=BB74_33 Depth=2
	v_cmp_gt_u64_e32 vcc, s[22:23], v[12:13]
	v_mov_b32_e32 v15, s19
	s_and_saveexec_b64 s[28:29], vcc
	s_cbranch_execz .LBB74_36
; %bb.35:                               ;   in Loop: Header=BB74_33 Depth=2
	v_lshl_add_u64 v[16:17], v[12:13], 2, v[6:7]
	global_load_dword v15, v[16:17], off
.LBB74_36:                              ;   in Loop: Header=BB74_33 Depth=2
	s_or_b64 exec, exec, s[28:29]
	s_waitcnt vmcnt(0)
	ds_write_b32 v19, v15
	v_cmp_gt_u64_e32 vcc, s[22:23], v[10:11]
	v_mov_b32_e32 v15, s19
	s_and_saveexec_b64 s[28:29], vcc
	s_cbranch_execz .LBB74_38
; %bb.37:                               ;   in Loop: Header=BB74_33 Depth=2
	v_lshl_add_u64 v[16:17], v[10:11], 2, v[6:7]
	global_load_dword v15, v[16:17], off
.LBB74_38:                              ;   in Loop: Header=BB74_33 Depth=2
	s_or_b64 exec, exec, s[28:29]
	s_waitcnt vmcnt(0)
	ds_write_b32 v20, v15
	s_and_b64 exec, exec, s[0:1]
	s_cbranch_execz .LBB74_40
; %bb.39:                               ;   in Loop: Header=BB74_33 Depth=2
	ds_read_b32 v15, v18
	s_waitcnt lgkmcnt(0)
	v_add_f32_e32 v14, v14, v15
	ds_write_b32 v18, v14
.LBB74_40:                              ;   in Loop: Header=BB74_33 Depth=2
	s_or_b64 exec, exec, s[26:27]
	s_mov_b64 s[26:27], 0
	v_mov_b32_e32 v23, 0
	s_waitcnt lgkmcnt(0)
	s_barrier
	s_branch .LBB74_43
.LBB74_41:                              ;   in Loop: Header=BB74_43 Depth=3
	s_or_b64 exec, exec, s[30:31]
	v_lshrrev_b32_e32 v15, v23, v0
	v_lshl_or_b32 v14, v15, v22, v14
	v_lshl_add_u32 v14, v14, 2, v18
	v_lshl_add_u32 v15, v16, 2, v14
	v_add_u32_e32 v14, -4, v14
	ds_read_b32 v16, v15
	ds_read_b32 v14, v14
	s_waitcnt lgkmcnt(0)
	v_add_f32_e32 v14, v16, v14
	ds_write_b32 v15, v14
.LBB74_42:                              ;   in Loop: Header=BB74_43 Depth=3
	s_or_b64 exec, exec, s[28:29]
	v_cmp_eq_u32_e32 vcc, s18, v22
	s_or_b64 s[26:27], vcc, s[26:27]
	v_mov_b32_e32 v23, v22
	s_waitcnt lgkmcnt(0)
	s_barrier
	s_andn2_b64 exec, exec, s[26:27]
	s_cbranch_execz .LBB74_48
.LBB74_43:                              ;   Parent Loop BB74_30 Depth=1
                                        ;     Parent Loop BB74_33 Depth=2
                                        ; =>    This Inner Loop Header: Depth=3
	v_add_u32_e32 v22, 1, v23
	s_and_saveexec_b64 s[28:29], s[6:7]
	s_xor_b64 s[28:29], exec, s[28:29]
; %bb.44:                               ;   in Loop: Header=BB74_43 Depth=3
	v_add_u32_e32 v22, 1, v23
                                        ; implicit-def: $vgpr23
; %bb.45:                               ;   in Loop: Header=BB74_43 Depth=3
	s_andn2_saveexec_b64 s[28:29], s[28:29]
	s_cbranch_execz .LBB74_42
; %bb.46:                               ;   in Loop: Header=BB74_43 Depth=3
	v_lshlrev_b32_e64 v14, v23, 1
	v_ashrrev_i32_e32 v15, 31, v14
	v_cmp_ge_u64_e32 vcc, v[0:1], v[14:15]
	v_mov_b64_e32 v[16:17], v[0:1]
	s_and_saveexec_b64 s[30:31], vcc
	s_cbranch_execz .LBB74_41
; %bb.47:                               ;   in Loop: Header=BB74_43 Depth=3
	v_cvt_f32_u32_e32 v15, v14
	v_sub_u32_e32 v16, 0, v14
	v_rcp_iflag_f32_e32 v15, v15
	s_nop 0
	v_mul_f32_e32 v15, 0x4f7ffffe, v15
	v_cvt_u32_f32_e32 v15, v15
	v_mul_lo_u32 v16, v16, v15
	v_mul_hi_u32 v16, v15, v16
	v_add_u32_e32 v15, v15, v16
	v_mul_hi_u32 v15, v0, v15
	v_mul_lo_u32 v15, v15, v14
	v_sub_u32_e32 v15, v0, v15
	v_sub_u32_e32 v16, v15, v14
	v_cmp_ge_u32_e32 vcc, v15, v14
	s_nop 1
	v_cndmask_b32_e32 v15, v15, v16, vcc
	v_sub_u32_e32 v16, v15, v14
	v_cmp_ge_u32_e32 vcc, v15, v14
	s_nop 1
	v_cndmask_b32_e32 v16, v15, v16, vcc
	s_branch .LBB74_41
.LBB74_48:                              ;   in Loop: Header=BB74_33 Depth=2
	s_or_b64 exec, exec, s[26:27]
	s_and_saveexec_b64 s[26:27], s[4:5]
	s_cbranch_execz .LBB74_32
; %bb.49:                               ;   in Loop: Header=BB74_33 Depth=2
	v_cmp_gt_u64_e32 vcc, s[22:23], v[12:13]
	s_and_saveexec_b64 s[28:29], vcc
	s_cbranch_execz .LBB74_51
; %bb.50:                               ;   in Loop: Header=BB74_33 Depth=2
	ds_read_b32 v14, v19
	v_lshl_add_u64 v[12:13], v[12:13], 2, v[8:9]
	s_waitcnt lgkmcnt(0)
	global_store_dword v[12:13], v14, off
.LBB74_51:                              ;   in Loop: Header=BB74_33 Depth=2
	s_or_b64 exec, exec, s[28:29]
	v_cmp_gt_u64_e32 vcc, s[22:23], v[10:11]
	s_and_b64 exec, exec, vcc
	s_cbranch_execz .LBB74_32
; %bb.52:                               ;   in Loop: Header=BB74_33 Depth=2
	ds_read_b32 v12, v20
	v_lshl_add_u64 v[10:11], v[10:11], 2, v[8:9]
	s_waitcnt lgkmcnt(0)
	global_store_dword v[10:11], v12, off
	s_branch .LBB74_32
.LBB74_53:
	s_endpgm
	.section	.rodata,"a",@progbits
	.p2align	6, 0x0
	.amdhsa_kernel _ZN2at6native32tensor_kernel_scan_innermost_dimIfSt4plusIfEEEvPT_PKS4_jjjS4_T0_
		.amdhsa_group_segment_fixed_size 0
		.amdhsa_private_segment_fixed_size 0
		.amdhsa_kernarg_size 296
		.amdhsa_user_sgpr_count 2
		.amdhsa_user_sgpr_dispatch_ptr 0
		.amdhsa_user_sgpr_queue_ptr 0
		.amdhsa_user_sgpr_kernarg_segment_ptr 1
		.amdhsa_user_sgpr_dispatch_id 0
		.amdhsa_user_sgpr_kernarg_preload_length 0
		.amdhsa_user_sgpr_kernarg_preload_offset 0
		.amdhsa_user_sgpr_private_segment_size 0
		.amdhsa_uses_dynamic_stack 0
		.amdhsa_enable_private_segment 0
		.amdhsa_system_sgpr_workgroup_id_x 1
		.amdhsa_system_sgpr_workgroup_id_y 0
		.amdhsa_system_sgpr_workgroup_id_z 0
		.amdhsa_system_sgpr_workgroup_info 0
		.amdhsa_system_vgpr_workitem_id 1
		.amdhsa_next_free_vgpr 24
		.amdhsa_next_free_sgpr 34
		.amdhsa_accum_offset 24
		.amdhsa_reserve_vcc 1
		.amdhsa_float_round_mode_32 0
		.amdhsa_float_round_mode_16_64 0
		.amdhsa_float_denorm_mode_32 3
		.amdhsa_float_denorm_mode_16_64 3
		.amdhsa_dx10_clamp 1
		.amdhsa_ieee_mode 1
		.amdhsa_fp16_overflow 0
		.amdhsa_tg_split 0
		.amdhsa_exception_fp_ieee_invalid_op 0
		.amdhsa_exception_fp_denorm_src 0
		.amdhsa_exception_fp_ieee_div_zero 0
		.amdhsa_exception_fp_ieee_overflow 0
		.amdhsa_exception_fp_ieee_underflow 0
		.amdhsa_exception_fp_ieee_inexact 0
		.amdhsa_exception_int_div_zero 0
	.end_amdhsa_kernel
	.section	.text._ZN2at6native32tensor_kernel_scan_innermost_dimIfSt4plusIfEEEvPT_PKS4_jjjS4_T0_,"axG",@progbits,_ZN2at6native32tensor_kernel_scan_innermost_dimIfSt4plusIfEEEvPT_PKS4_jjjS4_T0_,comdat
.Lfunc_end74:
	.size	_ZN2at6native32tensor_kernel_scan_innermost_dimIfSt4plusIfEEEvPT_PKS4_jjjS4_T0_, .Lfunc_end74-_ZN2at6native32tensor_kernel_scan_innermost_dimIfSt4plusIfEEEvPT_PKS4_jjjS4_T0_
                                        ; -- End function
	.section	.AMDGPU.csdata,"",@progbits
; Kernel info:
; codeLenInByte = 1624
; NumSgprs: 40
; NumVgprs: 24
; NumAgprs: 0
; TotalNumVgprs: 24
; ScratchSize: 0
; MemoryBound: 0
; FloatMode: 240
; IeeeMode: 1
; LDSByteSize: 0 bytes/workgroup (compile time only)
; SGPRBlocks: 4
; VGPRBlocks: 2
; NumSGPRsForWavesPerEU: 40
; NumVGPRsForWavesPerEU: 24
; AccumOffset: 24
; Occupancy: 8
; WaveLimiterHint : 0
; COMPUTE_PGM_RSRC2:SCRATCH_EN: 0
; COMPUTE_PGM_RSRC2:USER_SGPR: 2
; COMPUTE_PGM_RSRC2:TRAP_HANDLER: 0
; COMPUTE_PGM_RSRC2:TGID_X_EN: 1
; COMPUTE_PGM_RSRC2:TGID_Y_EN: 0
; COMPUTE_PGM_RSRC2:TGID_Z_EN: 0
; COMPUTE_PGM_RSRC2:TIDIG_COMP_CNT: 1
; COMPUTE_PGM_RSRC3_GFX90A:ACCUM_OFFSET: 5
; COMPUTE_PGM_RSRC3_GFX90A:TG_SPLIT: 0
	.section	.text._ZN2at6native28tensor_kernel_scan_outer_dimIfjSt4plusIfEEEvPT_PKS4_jjjS4_T1_,"axG",@progbits,_ZN2at6native28tensor_kernel_scan_outer_dimIfjSt4plusIfEEEvPT_PKS4_jjjS4_T1_,comdat
	.protected	_ZN2at6native28tensor_kernel_scan_outer_dimIfjSt4plusIfEEEvPT_PKS4_jjjS4_T1_ ; -- Begin function _ZN2at6native28tensor_kernel_scan_outer_dimIfjSt4plusIfEEEvPT_PKS4_jjjS4_T1_
	.globl	_ZN2at6native28tensor_kernel_scan_outer_dimIfjSt4plusIfEEEvPT_PKS4_jjjS4_T1_
	.p2align	8
	.type	_ZN2at6native28tensor_kernel_scan_outer_dimIfjSt4plusIfEEEvPT_PKS4_jjjS4_T1_,@function
_ZN2at6native28tensor_kernel_scan_outer_dimIfjSt4plusIfEEEvPT_PKS4_jjjS4_T1_: ; @_ZN2at6native28tensor_kernel_scan_outer_dimIfjSt4plusIfEEEvPT_PKS4_jjjS4_T1_
; %bb.0:
	s_load_dwordx4 s[8:11], s[0:1], 0x10
	s_waitcnt lgkmcnt(0)
	s_cmp_ge_u32 s2, s8
	s_cbranch_scc1 .LBB75_9
; %bb.1:
	s_load_dword s4, s[0:1], 0x34
	s_load_dwordx4 s[12:15], s[0:1], 0x0
	s_load_dword s26, s[0:1], 0x28
	s_add_u32 s6, s0, 40
	s_addc_u32 s7, s1, 0
	s_waitcnt lgkmcnt(0)
	s_and_b32 s27, s4, 0xffff
	s_mul_i32 s3, s3, s27
	s_cmp_lg_u32 s10, 0
	v_add_u32_e32 v4, s3, v0
	s_mul_i32 s3, s2, s10
	s_cselect_b64 s[4:5], -1, 0
	s_mov_b32 s17, 0
	s_mov_b32 s16, s9
	s_mul_i32 s20, s3, s9
	s_mul_i32 s3, s26, s10
	v_cndmask_b32_e64 v0, 0, 1, s[4:5]
	v_cmp_gt_u32_e64 s[0:1], s9, v4
	s_mul_i32 s3, s3, s9
	s_lshl_b64 s[18:19], s[16:17], 2
	v_cmp_ne_u32_e64 s[4:5], 1, v0
	v_mov_b32_e32 v1, 0
	s_mov_b32 s16, s20
	s_branch .LBB75_3
.LBB75_2:                               ;   in Loop: Header=BB75_3 Depth=1
	s_or_b64 exec, exec, s[20:21]
	s_add_i32 s2, s26, s2
	s_add_i32 s16, s16, s3
	s_cmp_ge_u32 s2, s8
	s_cbranch_scc1 .LBB75_9
.LBB75_3:                               ; =>This Loop Header: Depth=1
                                        ;     Child Loop BB75_6 Depth 2
                                        ;       Child Loop BB75_8 Depth 3
	s_and_saveexec_b64 s[20:21], s[0:1]
	s_cbranch_execz .LBB75_2
; %bb.4:                                ;   in Loop: Header=BB75_3 Depth=1
	s_load_dword s28, s[6:7], 0x4
	s_lshl_b64 s[22:23], s[16:17], 2
	s_mov_b64 s[24:25], 0
	v_mov_b32_e32 v0, v4
	s_waitcnt lgkmcnt(0)
	s_mul_i32 s28, s28, s27
	s_branch .LBB75_6
.LBB75_5:                               ;   in Loop: Header=BB75_6 Depth=2
	v_add_u32_e32 v0, s28, v0
	v_cmp_le_u32_e32 vcc, s9, v0
	s_or_b64 s[24:25], vcc, s[24:25]
	s_andn2_b64 exec, exec, s[24:25]
	s_cbranch_execz .LBB75_2
.LBB75_6:                               ;   Parent Loop BB75_3 Depth=1
                                        ; =>  This Loop Header: Depth=2
                                        ;       Child Loop BB75_8 Depth 3
	s_and_b64 vcc, exec, s[4:5]
	s_cbranch_vccnz .LBB75_5
; %bb.7:                                ;   in Loop: Header=BB75_6 Depth=2
	v_lshl_add_u64 v[2:3], v[0:1], 2, s[22:23]
	v_mov_b32_e32 v5, s11
	s_mov_b32 s29, s10
.LBB75_8:                               ;   Parent Loop BB75_3 Depth=1
                                        ;     Parent Loop BB75_6 Depth=2
                                        ; =>    This Inner Loop Header: Depth=3
	v_lshl_add_u64 v[6:7], s[14:15], 0, v[2:3]
	global_load_dword v8, v[6:7], off
	s_add_i32 s29, s29, -1
	v_lshl_add_u64 v[6:7], s[12:13], 0, v[2:3]
	v_lshl_add_u64 v[2:3], v[2:3], 0, s[18:19]
	s_cmp_eq_u32 s29, 0
	s_waitcnt vmcnt(0)
	v_add_f32_e32 v5, v5, v8
	global_store_dword v[6:7], v5, off
	s_cbranch_scc0 .LBB75_8
	s_branch .LBB75_5
.LBB75_9:
	s_endpgm
	.section	.rodata,"a",@progbits
	.p2align	6, 0x0
	.amdhsa_kernel _ZN2at6native28tensor_kernel_scan_outer_dimIfjSt4plusIfEEEvPT_PKS4_jjjS4_T1_
		.amdhsa_group_segment_fixed_size 0
		.amdhsa_private_segment_fixed_size 0
		.amdhsa_kernarg_size 296
		.amdhsa_user_sgpr_count 2
		.amdhsa_user_sgpr_dispatch_ptr 0
		.amdhsa_user_sgpr_queue_ptr 0
		.amdhsa_user_sgpr_kernarg_segment_ptr 1
		.amdhsa_user_sgpr_dispatch_id 0
		.amdhsa_user_sgpr_kernarg_preload_length 0
		.amdhsa_user_sgpr_kernarg_preload_offset 0
		.amdhsa_user_sgpr_private_segment_size 0
		.amdhsa_uses_dynamic_stack 0
		.amdhsa_enable_private_segment 0
		.amdhsa_system_sgpr_workgroup_id_x 1
		.amdhsa_system_sgpr_workgroup_id_y 1
		.amdhsa_system_sgpr_workgroup_id_z 0
		.amdhsa_system_sgpr_workgroup_info 0
		.amdhsa_system_vgpr_workitem_id 0
		.amdhsa_next_free_vgpr 9
		.amdhsa_next_free_sgpr 30
		.amdhsa_accum_offset 12
		.amdhsa_reserve_vcc 1
		.amdhsa_float_round_mode_32 0
		.amdhsa_float_round_mode_16_64 0
		.amdhsa_float_denorm_mode_32 3
		.amdhsa_float_denorm_mode_16_64 3
		.amdhsa_dx10_clamp 1
		.amdhsa_ieee_mode 1
		.amdhsa_fp16_overflow 0
		.amdhsa_tg_split 0
		.amdhsa_exception_fp_ieee_invalid_op 0
		.amdhsa_exception_fp_denorm_src 0
		.amdhsa_exception_fp_ieee_div_zero 0
		.amdhsa_exception_fp_ieee_overflow 0
		.amdhsa_exception_fp_ieee_underflow 0
		.amdhsa_exception_fp_ieee_inexact 0
		.amdhsa_exception_int_div_zero 0
	.end_amdhsa_kernel
	.section	.text._ZN2at6native28tensor_kernel_scan_outer_dimIfjSt4plusIfEEEvPT_PKS4_jjjS4_T1_,"axG",@progbits,_ZN2at6native28tensor_kernel_scan_outer_dimIfjSt4plusIfEEEvPT_PKS4_jjjS4_T1_,comdat
.Lfunc_end75:
	.size	_ZN2at6native28tensor_kernel_scan_outer_dimIfjSt4plusIfEEEvPT_PKS4_jjjS4_T1_, .Lfunc_end75-_ZN2at6native28tensor_kernel_scan_outer_dimIfjSt4plusIfEEEvPT_PKS4_jjjS4_T1_
                                        ; -- End function
	.section	.AMDGPU.csdata,"",@progbits
; Kernel info:
; codeLenInByte = 316
; NumSgprs: 36
; NumVgprs: 9
; NumAgprs: 0
; TotalNumVgprs: 9
; ScratchSize: 0
; MemoryBound: 0
; FloatMode: 240
; IeeeMode: 1
; LDSByteSize: 0 bytes/workgroup (compile time only)
; SGPRBlocks: 4
; VGPRBlocks: 1
; NumSGPRsForWavesPerEU: 36
; NumVGPRsForWavesPerEU: 9
; AccumOffset: 12
; Occupancy: 8
; WaveLimiterHint : 0
; COMPUTE_PGM_RSRC2:SCRATCH_EN: 0
; COMPUTE_PGM_RSRC2:USER_SGPR: 2
; COMPUTE_PGM_RSRC2:TRAP_HANDLER: 0
; COMPUTE_PGM_RSRC2:TGID_X_EN: 1
; COMPUTE_PGM_RSRC2:TGID_Y_EN: 1
; COMPUTE_PGM_RSRC2:TGID_Z_EN: 0
; COMPUTE_PGM_RSRC2:TIDIG_COMP_CNT: 0
; COMPUTE_PGM_RSRC3_GFX90A:ACCUM_OFFSET: 2
; COMPUTE_PGM_RSRC3_GFX90A:TG_SPLIT: 0
	.section	.text._ZN2at6native28tensor_kernel_scan_outer_dimIfmSt4plusIfEEEvPT_PKS4_jjjS4_T1_,"axG",@progbits,_ZN2at6native28tensor_kernel_scan_outer_dimIfmSt4plusIfEEEvPT_PKS4_jjjS4_T1_,comdat
	.protected	_ZN2at6native28tensor_kernel_scan_outer_dimIfmSt4plusIfEEEvPT_PKS4_jjjS4_T1_ ; -- Begin function _ZN2at6native28tensor_kernel_scan_outer_dimIfmSt4plusIfEEEvPT_PKS4_jjjS4_T1_
	.globl	_ZN2at6native28tensor_kernel_scan_outer_dimIfmSt4plusIfEEEvPT_PKS4_jjjS4_T1_
	.p2align	8
	.type	_ZN2at6native28tensor_kernel_scan_outer_dimIfmSt4plusIfEEEvPT_PKS4_jjjS4_T1_,@function
_ZN2at6native28tensor_kernel_scan_outer_dimIfmSt4plusIfEEEvPT_PKS4_jjjS4_T1_: ; @_ZN2at6native28tensor_kernel_scan_outer_dimIfmSt4plusIfEEEvPT_PKS4_jjjS4_T1_
; %bb.0:
	s_load_dwordx4 s[8:11], s[0:1], 0x10
	s_waitcnt lgkmcnt(0)
	s_cmp_ge_u32 s2, s8
	s_cbranch_scc1 .LBB76_9
; %bb.1:
	s_load_dword s4, s[0:1], 0x34
	s_load_dwordx4 s[12:15], s[0:1], 0x0
	s_load_dword s26, s[0:1], 0x28
	s_add_u32 s6, s0, 40
	s_addc_u32 s7, s1, 0
	s_waitcnt lgkmcnt(0)
	s_and_b32 s27, s4, 0xffff
	s_cmp_lg_u32 s10, 0
	s_mul_i32 s3, s3, s27
	s_cselect_b64 s[20:21], -1, 0
	v_add_u32_e32 v4, s3, v0
	s_mov_b32 s5, 0
	s_mov_b32 s4, s9
	s_mul_hi_u32 s17, s10, s9
	s_mul_i32 s16, s10, s9
	v_cndmask_b32_e64 v0, 0, 1, s[20:21]
	v_cmp_gt_u32_e64 s[0:1], s9, v4
	s_lshl_b64 s[16:17], s[16:17], 2
	s_lshl_b64 s[18:19], s[4:5], 2
	v_cmp_ne_u32_e64 s[4:5], 1, v0
	v_mov_b32_e32 v1, 0
	s_branch .LBB76_3
.LBB76_2:                               ;   in Loop: Header=BB76_3 Depth=1
	s_or_b64 exec, exec, s[20:21]
	s_add_i32 s2, s2, s26
	s_cmp_ge_u32 s2, s8
	s_cbranch_scc1 .LBB76_9
.LBB76_3:                               ; =>This Loop Header: Depth=1
                                        ;     Child Loop BB76_6 Depth 2
                                        ;       Child Loop BB76_8 Depth 3
	s_and_saveexec_b64 s[20:21], s[0:1]
	s_cbranch_execz .LBB76_2
; %bb.4:                                ;   in Loop: Header=BB76_3 Depth=1
	s_load_dword s3, s[6:7], 0x4
	s_mul_i32 s23, s17, s2
	s_mul_hi_u32 s24, s16, s2
	s_mul_i32 s22, s16, s2
	s_add_i32 s23, s24, s23
	s_waitcnt lgkmcnt(0)
	s_mul_i32 s3, s3, s27
	s_mov_b64 s[24:25], 0
	v_mov_b32_e32 v0, v4
	s_branch .LBB76_6
.LBB76_5:                               ;   in Loop: Header=BB76_6 Depth=2
	v_add_u32_e32 v0, s3, v0
	v_cmp_le_u32_e32 vcc, s9, v0
	s_or_b64 s[24:25], vcc, s[24:25]
	s_andn2_b64 exec, exec, s[24:25]
	s_cbranch_execz .LBB76_2
.LBB76_6:                               ;   Parent Loop BB76_3 Depth=1
                                        ; =>  This Loop Header: Depth=2
                                        ;       Child Loop BB76_8 Depth 3
	s_and_b64 vcc, exec, s[4:5]
	s_cbranch_vccnz .LBB76_5
; %bb.7:                                ;   in Loop: Header=BB76_6 Depth=2
	v_lshl_add_u64 v[2:3], v[0:1], 2, s[22:23]
	v_mov_b32_e32 v5, s11
	s_mov_b32 s28, s10
.LBB76_8:                               ;   Parent Loop BB76_3 Depth=1
                                        ;     Parent Loop BB76_6 Depth=2
                                        ; =>    This Inner Loop Header: Depth=3
	v_lshl_add_u64 v[6:7], s[14:15], 0, v[2:3]
	global_load_dword v8, v[6:7], off
	s_add_i32 s28, s28, -1
	v_lshl_add_u64 v[6:7], s[12:13], 0, v[2:3]
	v_lshl_add_u64 v[2:3], v[2:3], 0, s[18:19]
	s_cmp_eq_u32 s28, 0
	s_waitcnt vmcnt(0)
	v_add_f32_e32 v5, v5, v8
	global_store_dword v[6:7], v5, off
	s_cbranch_scc0 .LBB76_8
	s_branch .LBB76_5
.LBB76_9:
	s_endpgm
	.section	.rodata,"a",@progbits
	.p2align	6, 0x0
	.amdhsa_kernel _ZN2at6native28tensor_kernel_scan_outer_dimIfmSt4plusIfEEEvPT_PKS4_jjjS4_T1_
		.amdhsa_group_segment_fixed_size 0
		.amdhsa_private_segment_fixed_size 0
		.amdhsa_kernarg_size 296
		.amdhsa_user_sgpr_count 2
		.amdhsa_user_sgpr_dispatch_ptr 0
		.amdhsa_user_sgpr_queue_ptr 0
		.amdhsa_user_sgpr_kernarg_segment_ptr 1
		.amdhsa_user_sgpr_dispatch_id 0
		.amdhsa_user_sgpr_kernarg_preload_length 0
		.amdhsa_user_sgpr_kernarg_preload_offset 0
		.amdhsa_user_sgpr_private_segment_size 0
		.amdhsa_uses_dynamic_stack 0
		.amdhsa_enable_private_segment 0
		.amdhsa_system_sgpr_workgroup_id_x 1
		.amdhsa_system_sgpr_workgroup_id_y 1
		.amdhsa_system_sgpr_workgroup_id_z 0
		.amdhsa_system_sgpr_workgroup_info 0
		.amdhsa_system_vgpr_workitem_id 0
		.amdhsa_next_free_vgpr 9
		.amdhsa_next_free_sgpr 29
		.amdhsa_accum_offset 12
		.amdhsa_reserve_vcc 1
		.amdhsa_float_round_mode_32 0
		.amdhsa_float_round_mode_16_64 0
		.amdhsa_float_denorm_mode_32 3
		.amdhsa_float_denorm_mode_16_64 3
		.amdhsa_dx10_clamp 1
		.amdhsa_ieee_mode 1
		.amdhsa_fp16_overflow 0
		.amdhsa_tg_split 0
		.amdhsa_exception_fp_ieee_invalid_op 0
		.amdhsa_exception_fp_denorm_src 0
		.amdhsa_exception_fp_ieee_div_zero 0
		.amdhsa_exception_fp_ieee_overflow 0
		.amdhsa_exception_fp_ieee_underflow 0
		.amdhsa_exception_fp_ieee_inexact 0
		.amdhsa_exception_int_div_zero 0
	.end_amdhsa_kernel
	.section	.text._ZN2at6native28tensor_kernel_scan_outer_dimIfmSt4plusIfEEEvPT_PKS4_jjjS4_T1_,"axG",@progbits,_ZN2at6native28tensor_kernel_scan_outer_dimIfmSt4plusIfEEEvPT_PKS4_jjjS4_T1_,comdat
.Lfunc_end76:
	.size	_ZN2at6native28tensor_kernel_scan_outer_dimIfmSt4plusIfEEEvPT_PKS4_jjjS4_T1_, .Lfunc_end76-_ZN2at6native28tensor_kernel_scan_outer_dimIfmSt4plusIfEEEvPT_PKS4_jjjS4_T1_
                                        ; -- End function
	.section	.AMDGPU.csdata,"",@progbits
; Kernel info:
; codeLenInByte = 316
; NumSgprs: 35
; NumVgprs: 9
; NumAgprs: 0
; TotalNumVgprs: 9
; ScratchSize: 0
; MemoryBound: 0
; FloatMode: 240
; IeeeMode: 1
; LDSByteSize: 0 bytes/workgroup (compile time only)
; SGPRBlocks: 4
; VGPRBlocks: 1
; NumSGPRsForWavesPerEU: 35
; NumVGPRsForWavesPerEU: 9
; AccumOffset: 12
; Occupancy: 8
; WaveLimiterHint : 0
; COMPUTE_PGM_RSRC2:SCRATCH_EN: 0
; COMPUTE_PGM_RSRC2:USER_SGPR: 2
; COMPUTE_PGM_RSRC2:TRAP_HANDLER: 0
; COMPUTE_PGM_RSRC2:TGID_X_EN: 1
; COMPUTE_PGM_RSRC2:TGID_Y_EN: 1
; COMPUTE_PGM_RSRC2:TGID_Z_EN: 0
; COMPUTE_PGM_RSRC2:TIDIG_COMP_CNT: 0
; COMPUTE_PGM_RSRC3_GFX90A:ACCUM_OFFSET: 2
; COMPUTE_PGM_RSRC3_GFX90A:TG_SPLIT: 0
	.section	.text._ZN2at4cuda3cub15calc_block_sumsILi128ELi16ELb0EN3c107complexIdEES5_EEvPKT2_PT3_li,"axG",@progbits,_ZN2at4cuda3cub15calc_block_sumsILi128ELi16ELb0EN3c107complexIdEES5_EEvPKT2_PT3_li,comdat
	.protected	_ZN2at4cuda3cub15calc_block_sumsILi128ELi16ELb0EN3c107complexIdEES5_EEvPKT2_PT3_li ; -- Begin function _ZN2at4cuda3cub15calc_block_sumsILi128ELi16ELb0EN3c107complexIdEES5_EEvPKT2_PT3_li
	.globl	_ZN2at4cuda3cub15calc_block_sumsILi128ELi16ELb0EN3c107complexIdEES5_EEvPKT2_PT3_li
	.p2align	8
	.type	_ZN2at4cuda3cub15calc_block_sumsILi128ELi16ELb0EN3c107complexIdEES5_EEvPKT2_PT3_li,@function
_ZN2at4cuda3cub15calc_block_sumsILi128ELi16ELb0EN3c107complexIdEES5_EEvPKT2_PT3_li: ; @_ZN2at4cuda3cub15calc_block_sumsILi128ELi16ELb0EN3c107complexIdEES5_EEvPKT2_PT3_li
; %bb.0:
	s_load_dword s16, s[0:1], 0x18
	s_load_dwordx2 s[4:5], s[0:1], 0x10
	s_waitcnt lgkmcnt(0)
	s_lshl_b32 s3, s16, 11
	s_ashr_i32 s6, s3, 31
	s_mul_hi_u32 s7, s3, s2
	s_mul_i32 s6, s6, s2
	s_add_i32 s11, s7, s6
	s_mul_i32 s10, s3, s2
	s_sub_u32 s8, s4, s10
	s_subb_u32 s9, s5, s11
	v_cmp_lt_i64_e64 s[4:5], s[8:9], 1
	s_and_b64 vcc, exec, s[4:5]
	s_cbranch_vccnz .LBB77_56
; %bb.1:
	s_load_dwordx4 s[4:7], s[0:1], 0x0
	s_cmp_gt_i32 s16, 0
	s_mov_b32 s3, 0
	s_cbranch_scc1 .LBB77_3
; %bb.2:
	s_mov_b64 s[0:1], -1
	s_mov_b64 s[14:15], 0
	v_mov_b64_e32 v[4:5], s[14:15]
	v_mov_b64_e32 v[2:3], s[14:15]
	s_cbranch_execz .LBB77_4
	s_branch .LBB77_53
.LBB77_3:
	s_mov_b64 s[0:1], 0
                                        ; implicit-def: $sgpr14_sgpr15
	v_mov_b64_e32 v[4:5], s[14:15]
	v_mov_b64_e32 v[2:3], s[14:15]
.LBB77_4:
	s_lshl_b64 s[10:11], s[10:11], 4
	v_lshrrev_b32_e32 v2, 2, v0
	s_waitcnt lgkmcnt(0)
	s_add_u32 s4, s4, s10
	v_and_b32_e32 v88, 0xf0, v2
	v_lshlrev_b32_e32 v2, 4, v0
	v_mov_b32_e32 v3, 0
	s_addc_u32 s5, s5, s11
	v_lshl_add_u64 v[72:73], s[4:5], 0, v[2:3]
	v_mov_b64_e32 v[4:5], 0
	v_mbcnt_lo_u32_b32 v2, -1, 0
	v_add_u32_e32 v1, 0x80, v0
	v_add_u32_e32 v74, 0x100, v0
	;; [unrolled: 1-line block ×7, first 2 shown]
	v_or_b32_e32 v80, 0x400, v0
	v_add_u32_e32 v81, 0x480, v0
	v_add_u32_e32 v82, 0x500, v0
	;; [unrolled: 1-line block ×7, first 2 shown]
	v_cmp_gt_u32_e64 s[0:1], 64, v0
	v_mov_b64_e32 v[70:71], 0x800
	s_movk_i32 s14, 0x2000
	s_movk_i32 s15, 0x3000
	;; [unrolled: 1-line block ×6, first 2 shown]
	s_mov_b64 s[4:5], 0x8000
	v_mbcnt_hi_u32_b32 v89, -1, v2
	v_mov_b64_e32 v[2:3], v[4:5]
	s_branch .LBB77_6
.LBB77_5:                               ;   in Loop: Header=BB77_6 Depth=1
	s_add_u32 s8, s8, 0xfffff800
	s_addc_u32 s9, s9, -1
	s_add_i32 s16, s16, -1
	s_cmp_eq_u32 s16, 0
	v_add_f64 v[4:5], v[4:5], v[8:9]
	v_add_f64 v[2:3], v[2:3], v[6:7]
	v_lshl_add_u64 v[72:73], v[72:73], 0, s[4:5]
	s_mov_b64 s[10:11], 0
	s_cselect_b64 s[12:13], -1, 0
	s_barrier
	s_andn2_b64 vcc, exec, s[12:13]
	s_cbranch_vccz .LBB77_52
.LBB77_6:                               ; =>This Inner Loop Header: Depth=1
	v_cmp_lt_i64_e32 vcc, s[8:9], v[70:71]
	s_cbranch_vccz .LBB77_44
; %bb.7:                                ;   in Loop: Header=BB77_6 Depth=1
	v_mov_b64_e32 v[8:9], 0
	v_cmp_gt_u32_e32 vcc, s8, v0
	v_mov_b64_e32 v[12:13], v[8:9]
	v_mov_b64_e32 v[10:11], v[8:9]
	s_and_saveexec_b64 s[10:11], vcc
	s_cbranch_execz .LBB77_9
; %bb.8:                                ;   in Loop: Header=BB77_6 Depth=1
	global_load_dwordx4 v[10:13], v[72:73], off
.LBB77_9:                               ;   in Loop: Header=BB77_6 Depth=1
	s_or_b64 exec, exec, s[10:11]
	v_cmp_gt_u32_e32 vcc, s8, v1
	v_mov_b64_e32 v[6:7], v[8:9]
	s_and_saveexec_b64 s[10:11], vcc
	s_cbranch_execz .LBB77_11
; %bb.10:                               ;   in Loop: Header=BB77_6 Depth=1
	global_load_dwordx4 v[6:9], v[72:73], off offset:2048
.LBB77_11:                              ;   in Loop: Header=BB77_6 Depth=1
	s_or_b64 exec, exec, s[10:11]
	v_mov_b64_e32 v[16:17], 0
	v_cmp_gt_u32_e32 vcc, s8, v74
	v_mov_b64_e32 v[20:21], v[16:17]
	v_mov_b64_e32 v[18:19], v[16:17]
	s_and_saveexec_b64 s[10:11], vcc
	s_cbranch_execz .LBB77_13
; %bb.12:                               ;   in Loop: Header=BB77_6 Depth=1
	v_add_co_u32_e32 v14, vcc, 0x1000, v72
	s_nop 1
	v_addc_co_u32_e32 v15, vcc, 0, v73, vcc
	global_load_dwordx4 v[18:21], v[14:15], off
.LBB77_13:                              ;   in Loop: Header=BB77_6 Depth=1
	s_or_b64 exec, exec, s[10:11]
	v_cmp_gt_u32_e32 vcc, s8, v75
	v_mov_b64_e32 v[14:15], v[16:17]
	s_and_saveexec_b64 s[10:11], vcc
	s_cbranch_execz .LBB77_15
; %bb.14:                               ;   in Loop: Header=BB77_6 Depth=1
	v_add_co_u32_e32 v14, vcc, 0x1000, v72
	s_nop 1
	v_addc_co_u32_e32 v15, vcc, 0, v73, vcc
	global_load_dwordx4 v[14:17], v[14:15], off offset:2048
.LBB77_15:                              ;   in Loop: Header=BB77_6 Depth=1
	s_or_b64 exec, exec, s[10:11]
	v_mov_b64_e32 v[24:25], 0
	v_cmp_gt_u32_e32 vcc, s8, v76
	v_mov_b64_e32 v[28:29], v[24:25]
	v_mov_b64_e32 v[26:27], v[24:25]
	s_and_saveexec_b64 s[10:11], vcc
	s_cbranch_execz .LBB77_17
; %bb.16:                               ;   in Loop: Header=BB77_6 Depth=1
	v_add_co_u32_e32 v22, vcc, 0x2000, v72
	s_nop 1
	v_addc_co_u32_e32 v23, vcc, 0, v73, vcc
	global_load_dwordx4 v[26:29], v[22:23], off
.LBB77_17:                              ;   in Loop: Header=BB77_6 Depth=1
	s_or_b64 exec, exec, s[10:11]
	v_cmp_gt_u32_e32 vcc, s8, v77
	v_mov_b64_e32 v[22:23], v[24:25]
	s_and_saveexec_b64 s[10:11], vcc
	s_cbranch_execz .LBB77_19
; %bb.18:                               ;   in Loop: Header=BB77_6 Depth=1
	v_add_co_u32_e32 v22, vcc, 0x2000, v72
	s_nop 1
	v_addc_co_u32_e32 v23, vcc, 0, v73, vcc
	global_load_dwordx4 v[22:25], v[22:23], off offset:2048
.LBB77_19:                              ;   in Loop: Header=BB77_6 Depth=1
	;; [unrolled: 24-line block ×7, first 2 shown]
	s_or_b64 exec, exec, s[10:11]
	s_waitcnt vmcnt(0)
	v_add_f64 v[6:7], v[10:11], v[6:7]
	v_add_f64 v[8:9], v[12:13], v[8:9]
	;; [unrolled: 1-line block ×30, first 2 shown]
	v_cmp_eq_u32_e32 vcc, 0, v89
	v_mov_b32_dpp v10, v6 quad_perm:[1,0,3,2] row_mask:0xf bank_mask:0xf
	v_mov_b32_dpp v11, v7 quad_perm:[1,0,3,2] row_mask:0xf bank_mask:0xf
	;; [unrolled: 1-line block ×4, first 2 shown]
	v_add_f64 v[6:7], v[6:7], v[10:11]
	v_add_f64 v[8:9], v[8:9], v[12:13]
	s_nop 0
	v_mov_b32_dpp v10, v6 quad_perm:[2,3,0,1] row_mask:0xf bank_mask:0xf
	v_mov_b32_dpp v11, v7 quad_perm:[2,3,0,1] row_mask:0xf bank_mask:0xf
	v_mov_b32_dpp v12, v8 quad_perm:[2,3,0,1] row_mask:0xf bank_mask:0xf
	v_mov_b32_dpp v13, v9 quad_perm:[2,3,0,1] row_mask:0xf bank_mask:0xf
	v_add_f64 v[6:7], v[6:7], v[10:11]
	v_add_f64 v[8:9], v[8:9], v[12:13]
	s_barrier
	v_mov_b32_dpp v10, v6 row_ror:4 row_mask:0xf bank_mask:0xf
	v_mov_b32_dpp v11, v7 row_ror:4 row_mask:0xf bank_mask:0xf
	;; [unrolled: 1-line block ×4, first 2 shown]
	v_add_f64 v[6:7], v[6:7], v[10:11]
	v_add_f64 v[8:9], v[8:9], v[12:13]
	s_nop 0
	v_mov_b32_dpp v10, v6 row_ror:8 row_mask:0xf bank_mask:0xf
	v_mov_b32_dpp v11, v7 row_ror:8 row_mask:0xf bank_mask:0xf
	v_mov_b32_dpp v12, v8 row_ror:8 row_mask:0xf bank_mask:0xf
	v_mov_b32_dpp v13, v9 row_ror:8 row_mask:0xf bank_mask:0xf
	v_add_f64 v[6:7], v[6:7], v[10:11]
	v_add_f64 v[8:9], v[8:9], v[12:13]
	s_nop 0
	v_mov_b32_dpp v10, v6 row_bcast:15 row_mask:0xf bank_mask:0xf
	v_mov_b32_dpp v11, v7 row_bcast:15 row_mask:0xf bank_mask:0xf
	;; [unrolled: 1-line block ×4, first 2 shown]
	v_add_f64 v[6:7], v[6:7], v[10:11]
	v_add_f64 v[8:9], v[8:9], v[12:13]
	s_nop 0
	v_mov_b32_dpp v10, v6 row_bcast:31 row_mask:0xf bank_mask:0xf
	v_mov_b32_dpp v11, v7 row_bcast:31 row_mask:0xf bank_mask:0xf
	;; [unrolled: 1-line block ×4, first 2 shown]
	v_add_f64 v[6:7], v[6:7], v[10:11]
	v_lshlrev_b32_e32 v10, 2, v89
	v_add_f64 v[8:9], v[8:9], v[12:13]
	v_or_b32_e32 v11, 0xfc, v10
	ds_bpermute_b32 v6, v11, v6
	ds_bpermute_b32 v7, v11, v7
	;; [unrolled: 1-line block ×4, first 2 shown]
	s_and_saveexec_b64 s[10:11], vcc
	s_cbranch_execz .LBB77_41
; %bb.40:                               ;   in Loop: Header=BB77_6 Depth=1
	s_waitcnt lgkmcnt(0)
	ds_write_b128 v88, v[6:9]
.LBB77_41:                              ;   in Loop: Header=BB77_6 Depth=1
	s_or_b64 exec, exec, s[10:11]
	s_waitcnt lgkmcnt(0)
	s_barrier
	s_and_saveexec_b64 s[10:11], s[0:1]
	s_cbranch_execz .LBB77_43
; %bb.42:                               ;   in Loop: Header=BB77_6 Depth=1
	v_and_b32_e32 v6, 1, v89
	v_lshlrev_b32_e32 v6, 4, v6
	ds_read_b128 v[6:9], v6
	v_or_b32_e32 v13, 4, v10
	s_waitcnt lgkmcnt(0)
	ds_bpermute_b32 v10, v13, v6
	ds_bpermute_b32 v11, v13, v7
	;; [unrolled: 1-line block ×4, first 2 shown]
	s_waitcnt lgkmcnt(2)
	v_add_f64 v[6:7], v[6:7], v[10:11]
	s_waitcnt lgkmcnt(0)
	v_add_f64 v[8:9], v[8:9], v[12:13]
.LBB77_43:                              ;   in Loop: Header=BB77_6 Depth=1
	s_or_b64 exec, exec, s[10:11]
	s_branch .LBB77_50
.LBB77_44:                              ;   in Loop: Header=BB77_6 Depth=1
                                        ; implicit-def: $vgpr8_vgpr9
	s_cbranch_execz .LBB77_50
; %bb.45:                               ;   in Loop: Header=BB77_6 Depth=1
	v_add_co_u32_e32 v26, vcc, 0x1000, v72
	global_load_dwordx4 v[6:9], v[72:73], off
	global_load_dwordx4 v[10:13], v[72:73], off offset:2048
	v_addc_co_u32_e32 v27, vcc, 0, v73, vcc
	v_add_co_u32_e32 v34, vcc, s14, v72
	s_waitcnt vmcnt(0)
	v_add_f64 v[6:7], v[6:7], v[10:11]
	v_addc_co_u32_e32 v35, vcc, 0, v73, vcc
	v_add_co_u32_e32 v36, vcc, s15, v72
	v_add_f64 v[8:9], v[8:9], v[12:13]
	s_nop 0
	v_addc_co_u32_e32 v37, vcc, 0, v73, vcc
	global_load_dwordx4 v[14:17], v[26:27], off
	global_load_dwordx4 v[18:21], v[26:27], off offset:2048
	global_load_dwordx4 v[22:25], v[36:37], off offset:-4096
	v_add_co_u32_e32 v38, vcc, s17, v72
	s_waitcnt vmcnt(2)
	v_add_f64 v[6:7], v[6:7], v[14:15]
	v_addc_co_u32_e32 v39, vcc, 0, v73, vcc
	v_add_co_u32_e32 v50, vcc, s18, v72
	v_add_f64 v[8:9], v[8:9], v[16:17]
	s_nop 0
	v_addc_co_u32_e32 v51, vcc, 0, v73, vcc
	global_load_dwordx4 v[26:29], v[34:35], off offset:2048
	global_load_dwordx4 v[30:33], v[36:37], off
                                        ; kill: killed $vgpr34 killed $vgpr35
	s_nop 0
	global_load_dwordx4 v[34:37], v[36:37], off offset:2048
	s_nop 0
	global_load_dwordx4 v[38:41], v[38:39], off offset:2048
	s_nop 0
	global_load_dwordx4 v[42:45], v[50:51], off offset:-4096
	global_load_dwordx4 v[46:49], v[50:51], off
	v_add_co_u32_e32 v66, vcc, s20, v72
	s_waitcnt vmcnt(7)
	v_add_f64 v[6:7], v[6:7], v[18:19]
	v_addc_co_u32_e32 v67, vcc, 0, v73, vcc
	global_load_dwordx4 v[50:53], v[50:51], off offset:2048
	s_nop 0
	global_load_dwordx4 v[54:57], v[66:67], off offset:-4096
	v_add_co_u32_e32 v58, vcc, s19, v72
	v_add_f64 v[8:9], v[8:9], v[20:21]
	s_nop 0
	v_addc_co_u32_e32 v59, vcc, 0, v73, vcc
	global_load_dwordx4 v[58:61], v[58:59], off offset:2048
	s_nop 0
	global_load_dwordx4 v[62:65], v[66:67], off
	s_nop 0
	global_load_dwordx4 v[66:69], v[66:67], off offset:2048
	s_waitcnt vmcnt(11)
	v_add_f64 v[6:7], v[6:7], v[22:23]
	v_add_f64 v[8:9], v[8:9], v[24:25]
	v_cmp_eq_u32_e32 vcc, 0, v89
	s_barrier
	s_waitcnt vmcnt(10)
	v_add_f64 v[6:7], v[6:7], v[26:27]
	v_add_f64 v[8:9], v[8:9], v[28:29]
	s_waitcnt vmcnt(9)
	v_add_f64 v[6:7], v[6:7], v[30:31]
	v_add_f64 v[8:9], v[8:9], v[32:33]
	;; [unrolled: 3-line block ×4, first 2 shown]
	v_add_f64 v[6:7], v[6:7], v[38:39]
	v_add_f64 v[8:9], v[8:9], v[40:41]
	s_waitcnt vmcnt(5)
	v_add_f64 v[6:7], v[6:7], v[46:47]
	v_add_f64 v[8:9], v[8:9], v[48:49]
	s_waitcnt vmcnt(4)
	;; [unrolled: 3-line block ×6, first 2 shown]
	v_add_f64 v[6:7], v[6:7], v[66:67]
	v_add_f64 v[8:9], v[8:9], v[68:69]
	s_nop 0
	v_mov_b32_dpp v10, v6 quad_perm:[1,0,3,2] row_mask:0xf bank_mask:0xf
	v_mov_b32_dpp v11, v7 quad_perm:[1,0,3,2] row_mask:0xf bank_mask:0xf
	;; [unrolled: 1-line block ×4, first 2 shown]
	v_add_f64 v[6:7], v[6:7], v[10:11]
	v_add_f64 v[8:9], v[8:9], v[12:13]
	s_nop 0
	v_mov_b32_dpp v10, v6 quad_perm:[2,3,0,1] row_mask:0xf bank_mask:0xf
	v_mov_b32_dpp v11, v7 quad_perm:[2,3,0,1] row_mask:0xf bank_mask:0xf
	;; [unrolled: 1-line block ×4, first 2 shown]
	v_add_f64 v[6:7], v[6:7], v[10:11]
	v_add_f64 v[8:9], v[8:9], v[12:13]
	s_nop 0
	v_mov_b32_dpp v10, v6 row_ror:4 row_mask:0xf bank_mask:0xf
	v_mov_b32_dpp v11, v7 row_ror:4 row_mask:0xf bank_mask:0xf
	;; [unrolled: 1-line block ×4, first 2 shown]
	v_add_f64 v[6:7], v[6:7], v[10:11]
	v_add_f64 v[8:9], v[8:9], v[12:13]
	s_nop 0
	v_mov_b32_dpp v10, v6 row_ror:8 row_mask:0xf bank_mask:0xf
	v_mov_b32_dpp v11, v7 row_ror:8 row_mask:0xf bank_mask:0xf
	;; [unrolled: 1-line block ×4, first 2 shown]
	v_add_f64 v[6:7], v[6:7], v[10:11]
	v_add_f64 v[8:9], v[8:9], v[12:13]
	s_nop 0
	v_mov_b32_dpp v10, v6 row_bcast:15 row_mask:0xf bank_mask:0xf
	v_mov_b32_dpp v11, v7 row_bcast:15 row_mask:0xf bank_mask:0xf
	;; [unrolled: 1-line block ×4, first 2 shown]
	v_add_f64 v[6:7], v[6:7], v[10:11]
	v_add_f64 v[8:9], v[8:9], v[12:13]
	s_nop 0
	v_mov_b32_dpp v10, v6 row_bcast:31 row_mask:0xf bank_mask:0xf
	v_mov_b32_dpp v11, v7 row_bcast:31 row_mask:0xf bank_mask:0xf
	;; [unrolled: 1-line block ×4, first 2 shown]
	v_add_f64 v[6:7], v[6:7], v[10:11]
	v_lshlrev_b32_e32 v10, 2, v89
	v_add_f64 v[8:9], v[8:9], v[12:13]
	v_or_b32_e32 v11, 0xfc, v10
	ds_bpermute_b32 v6, v11, v6
	ds_bpermute_b32 v7, v11, v7
	;; [unrolled: 1-line block ×4, first 2 shown]
	s_and_saveexec_b64 s[10:11], vcc
	s_cbranch_execz .LBB77_47
; %bb.46:                               ;   in Loop: Header=BB77_6 Depth=1
	s_waitcnt lgkmcnt(0)
	ds_write_b128 v88, v[6:9]
.LBB77_47:                              ;   in Loop: Header=BB77_6 Depth=1
	s_or_b64 exec, exec, s[10:11]
	s_waitcnt lgkmcnt(0)
	s_barrier
	s_and_saveexec_b64 s[10:11], s[0:1]
	s_cbranch_execz .LBB77_49
; %bb.48:                               ;   in Loop: Header=BB77_6 Depth=1
	v_and_b32_e32 v6, 1, v89
	v_lshlrev_b32_e32 v6, 4, v6
	ds_read_b128 v[6:9], v6
	v_or_b32_e32 v13, 4, v10
	s_waitcnt lgkmcnt(0)
	ds_bpermute_b32 v10, v13, v6
	ds_bpermute_b32 v11, v13, v7
	;; [unrolled: 1-line block ×4, first 2 shown]
	s_waitcnt lgkmcnt(2)
	v_add_f64 v[6:7], v[6:7], v[10:11]
	s_waitcnt lgkmcnt(0)
	v_add_f64 v[8:9], v[8:9], v[12:13]
.LBB77_49:                              ;   in Loop: Header=BB77_6 Depth=1
	s_or_b64 exec, exec, s[10:11]
.LBB77_50:                              ;   in Loop: Header=BB77_6 Depth=1
	v_mov_b64_e32 v[10:11], 0x801
	v_cmp_lt_i64_e32 vcc, s[8:9], v[10:11]
	s_cbranch_vccz .LBB77_5
; %bb.51:
	s_mov_b64 s[10:11], -1
                                        ; implicit-def: $sgpr8_sgpr9
                                        ; implicit-def: $sgpr16
                                        ; implicit-def: $vgpr72_vgpr73
                                        ; implicit-def: $vgpr2_vgpr3
.LBB77_52:
	s_xor_b64 s[0:1], s[10:11], -1
.LBB77_53:
	s_and_b64 vcc, exec, s[0:1]
	s_cbranch_vccz .LBB77_56
; %bb.54:
	v_cmp_eq_u32_e32 vcc, 0, v0
	s_and_saveexec_b64 s[0:1], vcc
	s_cbranch_execz .LBB77_56
; %bb.55:
	s_lshl_b64 s[0:1], s[2:3], 4
	s_waitcnt lgkmcnt(0)
	s_add_u32 s0, s6, s0
	s_addc_u32 s1, s7, s1
	v_mov_b32_e32 v0, 0
	global_store_dwordx4 v0, v[2:5], s[0:1]
.LBB77_56:
	s_endpgm
	.section	.rodata,"a",@progbits
	.p2align	6, 0x0
	.amdhsa_kernel _ZN2at4cuda3cub15calc_block_sumsILi128ELi16ELb0EN3c107complexIdEES5_EEvPKT2_PT3_li
		.amdhsa_group_segment_fixed_size 32
		.amdhsa_private_segment_fixed_size 0
		.amdhsa_kernarg_size 28
		.amdhsa_user_sgpr_count 2
		.amdhsa_user_sgpr_dispatch_ptr 0
		.amdhsa_user_sgpr_queue_ptr 0
		.amdhsa_user_sgpr_kernarg_segment_ptr 1
		.amdhsa_user_sgpr_dispatch_id 0
		.amdhsa_user_sgpr_kernarg_preload_length 0
		.amdhsa_user_sgpr_kernarg_preload_offset 0
		.amdhsa_user_sgpr_private_segment_size 0
		.amdhsa_uses_dynamic_stack 0
		.amdhsa_enable_private_segment 0
		.amdhsa_system_sgpr_workgroup_id_x 1
		.amdhsa_system_sgpr_workgroup_id_y 0
		.amdhsa_system_sgpr_workgroup_id_z 0
		.amdhsa_system_sgpr_workgroup_info 0
		.amdhsa_system_vgpr_workitem_id 0
		.amdhsa_next_free_vgpr 90
		.amdhsa_next_free_sgpr 21
		.amdhsa_accum_offset 92
		.amdhsa_reserve_vcc 1
		.amdhsa_float_round_mode_32 0
		.amdhsa_float_round_mode_16_64 0
		.amdhsa_float_denorm_mode_32 3
		.amdhsa_float_denorm_mode_16_64 3
		.amdhsa_dx10_clamp 1
		.amdhsa_ieee_mode 1
		.amdhsa_fp16_overflow 0
		.amdhsa_tg_split 0
		.amdhsa_exception_fp_ieee_invalid_op 0
		.amdhsa_exception_fp_denorm_src 0
		.amdhsa_exception_fp_ieee_div_zero 0
		.amdhsa_exception_fp_ieee_overflow 0
		.amdhsa_exception_fp_ieee_underflow 0
		.amdhsa_exception_fp_ieee_inexact 0
		.amdhsa_exception_int_div_zero 0
	.end_amdhsa_kernel
	.section	.text._ZN2at4cuda3cub15calc_block_sumsILi128ELi16ELb0EN3c107complexIdEES5_EEvPKT2_PT3_li,"axG",@progbits,_ZN2at4cuda3cub15calc_block_sumsILi128ELi16ELb0EN3c107complexIdEES5_EEvPKT2_PT3_li,comdat
.Lfunc_end77:
	.size	_ZN2at4cuda3cub15calc_block_sumsILi128ELi16ELb0EN3c107complexIdEES5_EEvPKT2_PT3_li, .Lfunc_end77-_ZN2at4cuda3cub15calc_block_sumsILi128ELi16ELb0EN3c107complexIdEES5_EEvPKT2_PT3_li
                                        ; -- End function
	.section	.AMDGPU.csdata,"",@progbits
; Kernel info:
; codeLenInByte = 2988
; NumSgprs: 27
; NumVgprs: 90
; NumAgprs: 0
; TotalNumVgprs: 90
; ScratchSize: 0
; MemoryBound: 1
; FloatMode: 240
; IeeeMode: 1
; LDSByteSize: 32 bytes/workgroup (compile time only)
; SGPRBlocks: 3
; VGPRBlocks: 11
; NumSGPRsForWavesPerEU: 27
; NumVGPRsForWavesPerEU: 90
; AccumOffset: 92
; Occupancy: 5
; WaveLimiterHint : 1
; COMPUTE_PGM_RSRC2:SCRATCH_EN: 0
; COMPUTE_PGM_RSRC2:USER_SGPR: 2
; COMPUTE_PGM_RSRC2:TRAP_HANDLER: 0
; COMPUTE_PGM_RSRC2:TGID_X_EN: 1
; COMPUTE_PGM_RSRC2:TGID_Y_EN: 0
; COMPUTE_PGM_RSRC2:TGID_Z_EN: 0
; COMPUTE_PGM_RSRC2:TIDIG_COMP_CNT: 0
; COMPUTE_PGM_RSRC3_GFX90A:ACCUM_OFFSET: 22
; COMPUTE_PGM_RSRC3_GFX90A:TG_SPLIT: 0
	.section	.text._ZN2at4cuda3cub17final_scan_kernelILi128ELi16EN3c107complexIdEEEEvPKT1_PS6_S9_li,"axG",@progbits,_ZN2at4cuda3cub17final_scan_kernelILi128ELi16EN3c107complexIdEEEEvPKT1_PS6_S9_li,comdat
	.protected	_ZN2at4cuda3cub17final_scan_kernelILi128ELi16EN3c107complexIdEEEEvPKT1_PS6_S9_li ; -- Begin function _ZN2at4cuda3cub17final_scan_kernelILi128ELi16EN3c107complexIdEEEEvPKT1_PS6_S9_li
	.globl	_ZN2at4cuda3cub17final_scan_kernelILi128ELi16EN3c107complexIdEEEEvPKT1_PS6_S9_li
	.p2align	8
	.type	_ZN2at4cuda3cub17final_scan_kernelILi128ELi16EN3c107complexIdEEEEvPKT1_PS6_S9_li,@function
_ZN2at4cuda3cub17final_scan_kernelILi128ELi16EN3c107complexIdEEEEvPKT1_PS6_S9_li: ; @_ZN2at4cuda3cub17final_scan_kernelILi128ELi16EN3c107complexIdEEEEvPKT1_PS6_S9_li
; %bb.0:
	s_load_dword s33, s[0:1], 0x20
	s_load_dwordx8 s[36:43], s[0:1], 0x0
	s_waitcnt lgkmcnt(0)
	s_lshl_b32 s3, s33, 11
	s_ashr_i32 s4, s3, 31
	s_mul_hi_u32 s5, s3, s2
	s_mul_i32 s4, s4, s2
	s_add_i32 s7, s5, s4
	s_mul_i32 s6, s3, s2
	s_sub_u32 s28, s42, s6
	s_subb_u32 s29, s43, s7
	v_cmp_lt_i64_e64 s[4:5], s[28:29], 1
	s_and_b64 vcc, exec, s[4:5]
	s_cbranch_vccnz .LBB78_112
; %bb.1:
	v_mov_b64_e32 v[2:3], 0
	v_cmp_gt_u32_e32 vcc, s2, v0
	v_lshlrev_b32_e32 v1, 4, v0
	v_mov_b64_e32 v[4:5], v[2:3]
	scratch_store_dword off, v1, off offset:108 ; 4-byte Folded Spill
	s_and_saveexec_b64 s[4:5], vcc
	s_cbranch_execz .LBB78_3
; %bb.2:
	v_lshlrev_b32_e32 v1, 4, v0
	global_load_dwordx4 v[2:5], v1, s[40:41]
.LBB78_3:
	s_or_b64 exec, exec, s[4:5]
	s_load_dword s0, s[0:1], 0x34
	s_waitcnt lgkmcnt(0)
	s_and_b32 s3, s0, 0xffff
	v_add_u32_e32 v6, s3, v0
	v_cmp_gt_u32_e32 vcc, s2, v6
	s_and_saveexec_b64 s[0:1], vcc
	s_cbranch_execz .LBB78_7
; %bb.4:
	s_mov_b64 s[4:5], 0
	v_mov_b32_e32 v7, 0
.LBB78_5:                               ; =>This Inner Loop Header: Depth=1
	v_lshl_add_u64 v[8:9], v[6:7], 4, s[40:41]
	global_load_dwordx4 v[8:11], v[8:9], off
	v_add_u32_e32 v6, s3, v6
	v_cmp_le_u32_e32 vcc, s2, v6
	s_or_b64 s[4:5], vcc, s[4:5]
	s_waitcnt vmcnt(0)
	v_add_f64 v[2:3], v[2:3], v[8:9]
	v_add_f64 v[4:5], v[4:5], v[10:11]
	s_andn2_b64 exec, exec, s[4:5]
	s_cbranch_execnz .LBB78_5
; %bb.6:
	s_or_b64 exec, exec, s[4:5]
.LBB78_7:
	s_or_b64 exec, exec, s[0:1]
	s_waitcnt vmcnt(0)
	v_mov_b32_dpp v8, v2 quad_perm:[1,0,3,2] row_mask:0xf bank_mask:0xf
	v_mov_b32_dpp v9, v3 quad_perm:[1,0,3,2] row_mask:0xf bank_mask:0xf
	v_mov_b32_dpp v10, v4 quad_perm:[1,0,3,2] row_mask:0xf bank_mask:0xf
	v_mov_b32_dpp v11, v5 quad_perm:[1,0,3,2] row_mask:0xf bank_mask:0xf
	v_add_f64 v[2:3], v[2:3], v[8:9]
	v_add_f64 v[4:5], v[4:5], v[10:11]
	v_mbcnt_lo_u32_b32 v1, -1, 0
	v_mov_b32_dpp v8, v2 quad_perm:[2,3,0,1] row_mask:0xf bank_mask:0xf
	v_mov_b32_dpp v9, v3 quad_perm:[2,3,0,1] row_mask:0xf bank_mask:0xf
	;; [unrolled: 1-line block ×4, first 2 shown]
	v_add_f64 v[2:3], v[2:3], v[8:9]
	v_add_f64 v[4:5], v[4:5], v[10:11]
	v_mbcnt_hi_u32_b32 v6, -1, v1
	v_mov_b32_dpp v8, v2 row_ror:4 row_mask:0xf bank_mask:0xf
	v_mov_b32_dpp v9, v3 row_ror:4 row_mask:0xf bank_mask:0xf
	;; [unrolled: 1-line block ×4, first 2 shown]
	v_add_f64 v[2:3], v[2:3], v[8:9]
	v_add_f64 v[4:5], v[4:5], v[10:11]
	v_lshlrev_b32_e32 v1, 2, v6
	v_mov_b32_dpp v8, v2 row_ror:8 row_mask:0xf bank_mask:0xf
	v_mov_b32_dpp v9, v3 row_ror:8 row_mask:0xf bank_mask:0xf
	;; [unrolled: 1-line block ×4, first 2 shown]
	v_add_f64 v[2:3], v[2:3], v[8:9]
	v_add_f64 v[4:5], v[4:5], v[10:11]
	v_or_b32_e32 v7, 0xfc, v1
	v_mov_b32_dpp v8, v2 row_bcast:15 row_mask:0xf bank_mask:0xf
	v_mov_b32_dpp v9, v3 row_bcast:15 row_mask:0xf bank_mask:0xf
	;; [unrolled: 1-line block ×4, first 2 shown]
	v_add_f64 v[2:3], v[2:3], v[8:9]
	v_add_f64 v[4:5], v[4:5], v[10:11]
	v_cmp_eq_u32_e64 s[0:1], 0, v6
	v_mov_b32_dpp v8, v2 row_bcast:31 row_mask:0xf bank_mask:0xf
	v_mov_b32_dpp v9, v3 row_bcast:31 row_mask:0xf bank_mask:0xf
	;; [unrolled: 1-line block ×4, first 2 shown]
	v_add_f64 v[2:3], v[2:3], v[8:9]
	v_add_f64 v[4:5], v[4:5], v[10:11]
	ds_bpermute_b32 v2, v7, v2
	ds_bpermute_b32 v3, v7, v3
	;; [unrolled: 1-line block ×4, first 2 shown]
	s_waitcnt lgkmcnt(0)
	scratch_store_dwordx4 off, v[2:5], off offset:76 ; 16-byte Folded Spill
	s_and_saveexec_b64 s[2:3], s[0:1]
	s_cbranch_execz .LBB78_9
; %bb.8:
	scratch_load_dwordx4 v[8:11], off, off offset:76 ; 16-byte Folded Reload
	v_lshrrev_b32_e32 v2, 2, v0
	v_and_b32_e32 v2, 0xf0, v2
	s_waitcnt vmcnt(0)
	ds_write_b128 v2, v[8:11]
.LBB78_9:
	s_or_b64 exec, exec, s[2:3]
	v_cmp_lt_u32_e64 s[2:3], 63, v0
	v_cmp_gt_u32_e64 s[4:5], 64, v0
	s_waitcnt lgkmcnt(0)
	s_barrier
	s_and_saveexec_b64 s[8:9], s[4:5]
	s_cbranch_execz .LBB78_11
; %bb.10:
	v_and_b32_e32 v2, 1, v6
	v_lshlrev_b32_e32 v2, 4, v2
	ds_read_b128 v[2:5], v2
	v_or_b32_e32 v1, 4, v1
	s_waitcnt lgkmcnt(0)
	ds_bpermute_b32 v8, v1, v2
	ds_bpermute_b32 v9, v1, v3
	;; [unrolled: 1-line block ×4, first 2 shown]
	s_waitcnt lgkmcnt(2)
	v_add_f64 v[2:3], v[2:3], v[8:9]
	s_waitcnt lgkmcnt(0)
	v_add_f64 v[4:5], v[4:5], v[10:11]
	scratch_store_dwordx4 off, v[2:5], off offset:76 ; 16-byte Folded Spill
.LBB78_11:
	s_or_b64 exec, exec, s[8:9]
	s_cmp_gt_i32 s33, 0
	s_barrier
	s_cbranch_scc0 .LBB78_112
; %bb.12:
	v_lshlrev_b32_e32 v1, 4, v0
	v_and_b32_e32 v2, 0x3c00, v1
	v_or_b32_e32 v3, v6, v2
	v_lshrrev_b32_e32 v1, 5, v3
	v_add_u32_e32 v4, 64, v3
	v_add_lshl_u32 v1, v1, v3, 4
	scratch_store_dword off, v1, off offset:92 ; 4-byte Folded Spill
	v_lshrrev_b32_e32 v1, 5, v4
	v_or_b32_e32 v5, 0x80, v3
	v_add_lshl_u32 v1, v1, v4, 4
	scratch_store_dword off, v1, off        ; 4-byte Folded Spill
	v_lshrrev_b32_e32 v1, 5, v5
	v_add_u32_e32 v7, 0xc0, v3
	v_add_lshl_u32 v1, v1, v5, 4
	scratch_store_dword off, v1, off offset:4 ; 4-byte Folded Spill
	v_lshrrev_b32_e32 v1, 5, v7
	v_or_b32_e32 v8, 0x100, v3
	v_add_lshl_u32 v1, v1, v7, 4
	scratch_store_dword off, v1, off offset:8 ; 4-byte Folded Spill
	v_lshrrev_b32_e32 v1, 5, v8
	v_add_u32_e32 v9, 0x140, v3
	v_add_lshl_u32 v1, v1, v8, 4
	scratch_store_dword off, v1, off offset:12 ; 4-byte Folded Spill
	v_lshrrev_b32_e32 v1, 5, v9
	v_or_b32_e32 v10, 0x180, v3
	v_add_lshl_u32 v1, v1, v9, 4
	scratch_store_dword off, v1, off offset:16 ; 4-byte Folded Spill
	;; [unrolled: 8-line block ×6, first 2 shown]
	v_lshrrev_b32_e32 v1, 5, v18
	v_add_u32_e32 v19, 0x3c0, v3
	v_add_lshl_u32 v1, v1, v18, 4
	scratch_store_dword off, v1, off offset:52 ; 4-byte Folded Spill
	v_lshrrev_b32_e32 v1, 5, v19
	v_add_lshl_u32 v1, v1, v19, 4
	scratch_store_dword off, v1, off offset:56 ; 4-byte Folded Spill
	v_and_b32_e32 v1, 0x3c0, v0
	scratch_store_dword off, v3, off offset:96 ; 4-byte Folded Spill
	v_add_u32_e32 v3, v6, v1
	scratch_store_dword off, v4, off offset:112 ; 4-byte Folded Spill
	v_lshlrev_b32_e32 v4, 4, v3
	v_bfe_u32 v3, v3, 1, 27
	v_add_lshl_u32 v4, v3, v4, 4
	v_and_b32_e32 v3, 15, v6
	s_lshl_b64 s[26:27], s[6:7], 4
	v_cmp_ne_u32_e64 s[6:7], 0, v3
	v_cmp_lt_u32_e64 s[8:9], 1, v3
	v_cmp_lt_u32_e64 s[10:11], 3, v3
	v_cmp_lt_u32_e64 s[12:13], 7, v3
	v_and_b32_e32 v3, 16, v6
	v_min_u32_e32 v1, 64, v1
	v_cmp_ne_u32_e64 s[14:15], 0, v3
	v_lshrrev_b32_e32 v3, 6, v0
	v_or_b32_e32 v1, 63, v1
	scratch_store_dword off, v5, off offset:116 ; 4-byte Folded Spill
	v_cmp_eq_u32_e64 s[18:19], v1, v0
	v_lshlrev_b32_e32 v5, 4, v3
	v_and_b32_e32 v1, 1, v6
	v_cmp_eq_u32_e64 s[22:23], 1, v1
	v_add_u32_e32 v1, -16, v5
	scratch_store_dword off, v5, off offset:220 ; 4-byte Folded Spill
	scratch_store_dword off, v1, off offset:224 ; 4-byte Folded Spill
	v_add_u32_e32 v1, -1, v6
	v_and_b32_e32 v5, 64, v6
	v_cmp_lt_i32_e32 vcc, v1, v5
	v_mov_b32_e32 v79, 0
	v_lshlrev_b32_e32 v78, 14, v3
	v_cndmask_b32_e32 v1, v1, v6, vcc
	v_cmp_gt_u32_e64 s[20:21], 2, v0
	v_lshlrev_b32_e32 v5, 2, v1
	v_cmp_eq_u32_e64 s[24:25], 0, v0
	v_lshl_add_u64 v[0:1], s[26:27], 0, v[78:79]
	v_lshl_add_u64 v[70:71], s[36:37], 0, v[0:1]
	v_lshl_add_u64 v[92:93], s[38:39], 0, v[0:1]
	v_mov_b64_e32 v[0:1], 0x800
	s_add_u32 s30, s38, s26
	scratch_store_dwordx2 off, v[0:1], off offset:180 ; 8-byte Folded Spill
	v_mov_b64_e32 v[0:1], 0x7ff
	s_addc_u32 s31, s39, s27
	v_cmp_lt_u32_e64 s[16:17], 31, v6
	v_lshlrev_b32_e32 v90, 4, v6
	v_mov_b32_e32 v91, v79
	scratch_store_dwordx2 off, v[0:1], off offset:188 ; 8-byte Folded Spill
	s_movk_i32 s38, 0x1000
	v_lshlrev_b32_e32 v78, 4, v6
	v_lshlrev_b32_e32 v0, 4, v2
	s_mov_b64 s[34:35], 0x8000
	scratch_store_dword off, v7, off offset:120 ; 4-byte Folded Spill
	scratch_store_dword off, v8, off offset:124 ; 4-byte Folded Spill
	;; [unrolled: 1-line block ×13, first 2 shown]
	scratch_store_dwordx2 off, v[0:1], off offset:196 ; 8-byte Folded Spill
	scratch_store_dwordx2 off, v[90:91], off offset:172 ; 8-byte Folded Spill
	s_branch .LBB78_14
.LBB78_13:                              ;   in Loop: Header=BB78_14 Depth=1
	s_waitcnt lgkmcnt(0)
	s_barrier
	scratch_load_dwordx2 v[92:93], off, off offset:100 ; 8-byte Folded Reload
	s_add_u32 s28, s28, 0xfffff800
	s_addc_u32 s29, s29, -1
	s_add_u32 s30, s30, 0x8000
	s_addc_u32 s31, s31, 0
	s_add_i32 s33, s33, -1
	s_cmp_eq_u32 s33, 0
	s_waitcnt vmcnt(1)
	v_lshl_add_u64 v[70:71], v[70:71], 0, s[34:35]
	s_cselect_b64 s[26:27], -1, 0
	s_waitcnt vmcnt(0)
	v_lshl_add_u64 v[92:93], v[92:93], 0, s[34:35]
	scratch_load_dwordx2 v[90:91], off, off offset:172 ; 8-byte Folded Reload
	s_andn2_b64 vcc, exec, s[26:27]
	s_cbranch_vccz .LBB78_112
.LBB78_14:                              ; =>This Inner Loop Header: Depth=1
	scratch_load_dwordx2 v[0:1], off, off offset:188 ; 8-byte Folded Reload
	s_mov_b64 s[36:37], -1
	s_waitcnt vmcnt(0)
	v_cmp_gt_i64_e32 vcc, s[28:29], v[0:1]
	scratch_load_dword v0, off, off offset:96 ; 4-byte Folded Reload
	s_waitcnt vmcnt(0)
	v_cmp_gt_u32_e64 s[26:27], s28, v0
	s_cbranch_vccnz .LBB78_48
; %bb.15:                               ;   in Loop: Header=BB78_14 Depth=1
	v_mov_b64_e32 v[8:9], 0
	v_lshl_add_u64 v[0:1], v[70:71], 0, v[90:91]
	v_mov_b64_e32 v[12:13], v[8:9]
	v_mov_b64_e32 v[10:11], v[8:9]
	s_and_saveexec_b64 s[36:37], s[26:27]
	s_cbranch_execz .LBB78_17
; %bb.16:                               ;   in Loop: Header=BB78_14 Depth=1
	global_load_dwordx4 v[10:13], v[0:1], off
.LBB78_17:                              ;   in Loop: Header=BB78_14 Depth=1
	s_or_b64 exec, exec, s[36:37]
	scratch_load_dword v2, off, off offset:112 ; 4-byte Folded Reload
	v_mov_b64_e32 v[6:7], v[8:9]
	s_waitcnt vmcnt(0)
	v_cmp_gt_u32_e32 vcc, s28, v2
	s_and_saveexec_b64 s[26:27], vcc
	s_cbranch_execz .LBB78_19
; %bb.18:                               ;   in Loop: Header=BB78_14 Depth=1
	global_load_dwordx4 v[6:9], v[0:1], off offset:1024
.LBB78_19:                              ;   in Loop: Header=BB78_14 Depth=1
	s_or_b64 exec, exec, s[26:27]
	scratch_load_dword v2, off, off offset:116 ; 4-byte Folded Reload
	v_mov_b64_e32 v[16:17], 0
	v_mov_b64_e32 v[20:21], v[16:17]
	v_mov_b64_e32 v[18:19], v[16:17]
	s_waitcnt vmcnt(0)
	v_cmp_gt_u32_e32 vcc, s28, v2
	s_and_saveexec_b64 s[26:27], vcc
	s_cbranch_execz .LBB78_21
; %bb.20:                               ;   in Loop: Header=BB78_14 Depth=1
	global_load_dwordx4 v[18:21], v[0:1], off offset:2048
.LBB78_21:                              ;   in Loop: Header=BB78_14 Depth=1
	s_or_b64 exec, exec, s[26:27]
	scratch_load_dword v2, off, off offset:120 ; 4-byte Folded Reload
	v_mov_b64_e32 v[14:15], v[16:17]
	s_waitcnt vmcnt(0)
	v_cmp_gt_u32_e32 vcc, s28, v2
	s_and_saveexec_b64 s[26:27], vcc
	s_cbranch_execz .LBB78_23
; %bb.22:                               ;   in Loop: Header=BB78_14 Depth=1
	global_load_dwordx4 v[14:17], v[0:1], off offset:3072
.LBB78_23:                              ;   in Loop: Header=BB78_14 Depth=1
	s_or_b64 exec, exec, s[26:27]
	scratch_load_dword v2, off, off offset:124 ; 4-byte Folded Reload
	v_mov_b64_e32 v[24:25], 0
	v_mov_b64_e32 v[28:29], v[24:25]
	;; [unrolled: 1-line block ×3, first 2 shown]
	s_waitcnt vmcnt(0)
	v_cmp_gt_u32_e32 vcc, s28, v2
	s_and_saveexec_b64 s[26:27], vcc
	s_cbranch_execz .LBB78_25
; %bb.24:                               ;   in Loop: Header=BB78_14 Depth=1
	v_add_co_u32_e32 v2, vcc, 0x1000, v0
	s_nop 1
	v_addc_co_u32_e32 v3, vcc, 0, v1, vcc
	global_load_dwordx4 v[26:29], v[2:3], off
.LBB78_25:                              ;   in Loop: Header=BB78_14 Depth=1
	s_or_b64 exec, exec, s[26:27]
	scratch_load_dword v2, off, off offset:128 ; 4-byte Folded Reload
	v_mov_b64_e32 v[22:23], v[24:25]
	s_waitcnt vmcnt(0)
	v_cmp_gt_u32_e32 vcc, s28, v2
	s_and_saveexec_b64 s[26:27], vcc
	s_cbranch_execz .LBB78_27
; %bb.26:                               ;   in Loop: Header=BB78_14 Depth=1
	v_add_co_u32_e32 v2, vcc, 0x1000, v0
	s_nop 1
	v_addc_co_u32_e32 v3, vcc, 0, v1, vcc
	global_load_dwordx4 v[22:25], v[2:3], off offset:1024
.LBB78_27:                              ;   in Loop: Header=BB78_14 Depth=1
	s_or_b64 exec, exec, s[26:27]
	scratch_load_dword v2, off, off offset:132 ; 4-byte Folded Reload
	v_mov_b64_e32 v[32:33], 0
	v_mov_b64_e32 v[36:37], v[32:33]
	;; [unrolled: 1-line block ×3, first 2 shown]
	s_waitcnt vmcnt(0)
	v_cmp_gt_u32_e32 vcc, s28, v2
	s_and_saveexec_b64 s[26:27], vcc
	s_cbranch_execz .LBB78_29
; %bb.28:                               ;   in Loop: Header=BB78_14 Depth=1
	v_add_co_u32_e32 v2, vcc, 0x1000, v0
	s_nop 1
	v_addc_co_u32_e32 v3, vcc, 0, v1, vcc
	global_load_dwordx4 v[34:37], v[2:3], off offset:2048
.LBB78_29:                              ;   in Loop: Header=BB78_14 Depth=1
	s_or_b64 exec, exec, s[26:27]
	scratch_load_dword v2, off, off offset:136 ; 4-byte Folded Reload
	v_mov_b64_e32 v[30:31], v[32:33]
	s_waitcnt vmcnt(0)
	v_cmp_gt_u32_e32 vcc, s28, v2
	s_and_saveexec_b64 s[26:27], vcc
	s_cbranch_execz .LBB78_31
; %bb.30:                               ;   in Loop: Header=BB78_14 Depth=1
	v_add_co_u32_e32 v2, vcc, 0x1000, v0
	s_nop 1
	v_addc_co_u32_e32 v3, vcc, 0, v1, vcc
	global_load_dwordx4 v[30:33], v[2:3], off offset:3072
.LBB78_31:                              ;   in Loop: Header=BB78_14 Depth=1
	s_or_b64 exec, exec, s[26:27]
	scratch_load_dword v2, off, off offset:140 ; 4-byte Folded Reload
	v_mov_b64_e32 v[40:41], 0
	v_mov_b64_e32 v[44:45], v[40:41]
	;; [unrolled: 1-line block ×3, first 2 shown]
	s_waitcnt vmcnt(0)
	v_cmp_gt_u32_e32 vcc, s28, v2
	s_and_saveexec_b64 s[26:27], vcc
	s_cbranch_execz .LBB78_33
; %bb.32:                               ;   in Loop: Header=BB78_14 Depth=1
	v_add_co_u32_e32 v2, vcc, 0x2000, v0
	s_nop 1
	v_addc_co_u32_e32 v3, vcc, 0, v1, vcc
	global_load_dwordx4 v[42:45], v[2:3], off
.LBB78_33:                              ;   in Loop: Header=BB78_14 Depth=1
	s_or_b64 exec, exec, s[26:27]
	scratch_load_dword v2, off, off offset:144 ; 4-byte Folded Reload
	v_mov_b64_e32 v[38:39], v[40:41]
	s_waitcnt vmcnt(0)
	v_cmp_gt_u32_e32 vcc, s28, v2
	s_and_saveexec_b64 s[26:27], vcc
	s_cbranch_execz .LBB78_35
; %bb.34:                               ;   in Loop: Header=BB78_14 Depth=1
	v_add_co_u32_e32 v2, vcc, 0x2000, v0
	s_nop 1
	v_addc_co_u32_e32 v3, vcc, 0, v1, vcc
	global_load_dwordx4 v[38:41], v[2:3], off offset:1024
.LBB78_35:                              ;   in Loop: Header=BB78_14 Depth=1
	s_or_b64 exec, exec, s[26:27]
	scratch_load_dword v2, off, off offset:148 ; 4-byte Folded Reload
	v_mov_b64_e32 v[48:49], 0
	v_mov_b64_e32 v[52:53], v[48:49]
	;; [unrolled: 1-line block ×3, first 2 shown]
	s_waitcnt vmcnt(0)
	v_cmp_gt_u32_e32 vcc, s28, v2
	s_and_saveexec_b64 s[26:27], vcc
	s_cbranch_execz .LBB78_37
; %bb.36:                               ;   in Loop: Header=BB78_14 Depth=1
	v_add_co_u32_e32 v2, vcc, 0x2000, v0
	s_nop 1
	v_addc_co_u32_e32 v3, vcc, 0, v1, vcc
	global_load_dwordx4 v[50:53], v[2:3], off offset:2048
.LBB78_37:                              ;   in Loop: Header=BB78_14 Depth=1
	s_or_b64 exec, exec, s[26:27]
	scratch_load_dword v2, off, off offset:152 ; 4-byte Folded Reload
	v_mov_b64_e32 v[46:47], v[48:49]
	s_waitcnt vmcnt(0)
	v_cmp_gt_u32_e32 vcc, s28, v2
	s_and_saveexec_b64 s[26:27], vcc
	s_cbranch_execz .LBB78_39
; %bb.38:                               ;   in Loop: Header=BB78_14 Depth=1
	v_add_co_u32_e32 v2, vcc, 0x2000, v0
	s_nop 1
	v_addc_co_u32_e32 v3, vcc, 0, v1, vcc
	global_load_dwordx4 v[46:49], v[2:3], off offset:3072
.LBB78_39:                              ;   in Loop: Header=BB78_14 Depth=1
	s_or_b64 exec, exec, s[26:27]
	scratch_load_dword v2, off, off offset:156 ; 4-byte Folded Reload
	s_waitcnt lgkmcnt(0)
	v_mov_b64_e32 v[56:57], 0
	v_mov_b64_e32 v[60:61], v[56:57]
	;; [unrolled: 1-line block ×3, first 2 shown]
	s_waitcnt vmcnt(0)
	v_cmp_gt_u32_e32 vcc, s28, v2
	s_and_saveexec_b64 s[26:27], vcc
	s_cbranch_execz .LBB78_41
; %bb.40:                               ;   in Loop: Header=BB78_14 Depth=1
	v_add_co_u32_e32 v2, vcc, 0x3000, v0
	s_nop 1
	v_addc_co_u32_e32 v3, vcc, 0, v1, vcc
	global_load_dwordx4 v[58:61], v[2:3], off
.LBB78_41:                              ;   in Loop: Header=BB78_14 Depth=1
	s_or_b64 exec, exec, s[26:27]
	scratch_load_dword v2, off, off offset:160 ; 4-byte Folded Reload
	v_mov_b64_e32 v[54:55], v[56:57]
	s_waitcnt vmcnt(0)
	v_cmp_gt_u32_e32 vcc, s28, v2
	s_and_saveexec_b64 s[26:27], vcc
	s_cbranch_execz .LBB78_43
; %bb.42:                               ;   in Loop: Header=BB78_14 Depth=1
	v_add_co_u32_e32 v2, vcc, 0x3000, v0
	s_nop 1
	v_addc_co_u32_e32 v3, vcc, 0, v1, vcc
	global_load_dwordx4 v[54:57], v[2:3], off offset:1024
.LBB78_43:                              ;   in Loop: Header=BB78_14 Depth=1
	s_or_b64 exec, exec, s[26:27]
	scratch_load_dword v2, off, off offset:164 ; 4-byte Folded Reload
	v_mov_b64_e32 v[64:65], 0
	v_mov_b64_e32 v[68:69], v[64:65]
	;; [unrolled: 1-line block ×3, first 2 shown]
	s_waitcnt vmcnt(0)
	v_cmp_gt_u32_e32 vcc, s28, v2
	s_and_saveexec_b64 s[26:27], vcc
	s_cbranch_execz .LBB78_45
; %bb.44:                               ;   in Loop: Header=BB78_14 Depth=1
	v_add_co_u32_e32 v2, vcc, 0x3000, v0
	s_nop 1
	v_addc_co_u32_e32 v3, vcc, 0, v1, vcc
	global_load_dwordx4 v[66:69], v[2:3], off offset:2048
.LBB78_45:                              ;   in Loop: Header=BB78_14 Depth=1
	s_or_b64 exec, exec, s[26:27]
	scratch_load_dword v2, off, off offset:168 ; 4-byte Folded Reload
	s_mov_b64 s[36:37], 0
	v_mov_b64_e32 v[62:63], v[64:65]
	s_waitcnt vmcnt(0)
	v_cmp_gt_u32_e32 vcc, s28, v2
	s_and_saveexec_b64 s[26:27], vcc
	s_cbranch_execz .LBB78_47
; %bb.46:                               ;   in Loop: Header=BB78_14 Depth=1
	v_add_co_u32_e32 v0, vcc, 0x3000, v0
	s_nop 1
	v_addc_co_u32_e32 v1, vcc, 0, v1, vcc
	global_load_dwordx4 v[62:65], v[0:1], off offset:3072
.LBB78_47:                              ;   in Loop: Header=BB78_14 Depth=1
	s_or_b64 exec, exec, s[26:27]
	scratch_load_dword v0, off, off offset:92 ; 4-byte Folded Reload
	s_waitcnt vmcnt(0)
	ds_write_b128 v0, v[10:13]
	scratch_load_dword v0, off, off         ; 4-byte Folded Reload
	s_waitcnt vmcnt(0)
	ds_write_b128 v0, v[6:9]
	scratch_load_dword v0, off, off offset:4 ; 4-byte Folded Reload
	s_waitcnt vmcnt(0)
	ds_write_b128 v0, v[18:21]
	scratch_load_dword v0, off, off offset:8 ; 4-byte Folded Reload
	;; [unrolled: 3-line block ×14, first 2 shown]
	s_waitcnt vmcnt(0)
	ds_write_b128 v0, v[62:65]
	; wave barrier
.LBB78_48:                              ;   in Loop: Header=BB78_14 Depth=1
	s_and_b64 vcc, exec, s[36:37]
	s_cbranch_vccz .LBB78_50
; %bb.49:                               ;   in Loop: Header=BB78_14 Depth=1
	v_lshl_add_u64 v[50:51], v[70:71], 0, v[90:91]
	v_add_co_u32_e32 v30, vcc, 0x1000, v50
	global_load_dwordx4 v[0:3], v[50:51], off
	global_load_dwordx4 v[6:9], v[50:51], off offset:1024
	global_load_dwordx4 v[10:13], v[50:51], off offset:2048
	;; [unrolled: 1-line block ×3, first 2 shown]
	v_addc_co_u32_e32 v31, vcc, 0, v51, vcc
	v_add_co_u32_e32 v46, vcc, 0x2000, v50
	global_load_dwordx4 v[18:21], v[30:31], off
	global_load_dwordx4 v[22:25], v[30:31], off offset:1024
	global_load_dwordx4 v[26:29], v[30:31], off offset:2048
	s_nop 0
	global_load_dwordx4 v[30:33], v[30:31], off offset:3072
	v_addc_co_u32_e32 v47, vcc, 0, v51, vcc
	v_add_co_u32_e32 v62, vcc, 0x3000, v50
	global_load_dwordx4 v[34:37], v[46:47], off
	global_load_dwordx4 v[38:41], v[46:47], off offset:1024
	global_load_dwordx4 v[42:45], v[46:47], off offset:2048
	s_nop 0
	global_load_dwordx4 v[46:49], v[46:47], off offset:3072
	v_addc_co_u32_e32 v63, vcc, 0, v51, vcc
	global_load_dwordx4 v[50:53], v[62:63], off
	s_waitcnt lgkmcnt(0)
	global_load_dwordx4 v[54:57], v[62:63], off offset:1024
	global_load_dwordx4 v[58:61], v[62:63], off offset:2048
	s_nop 0
	global_load_dwordx4 v[62:65], v[62:63], off offset:3072
	s_nop 0
	scratch_load_dword v66, off, off offset:92 ; 4-byte Folded Reload
	s_waitcnt vmcnt(0)
	ds_write_b128 v66, v[0:3]
	scratch_load_dword v0, off, off         ; 4-byte Folded Reload
	s_waitcnt vmcnt(0)
	ds_write_b128 v0, v[6:9]
	scratch_load_dword v0, off, off offset:4 ; 4-byte Folded Reload
	s_waitcnt vmcnt(0)
	ds_write_b128 v0, v[10:13]
	scratch_load_dword v0, off, off offset:8 ; 4-byte Folded Reload
	;; [unrolled: 3-line block ×14, first 2 shown]
	s_waitcnt vmcnt(0)
	ds_write_b128 v0, v[62:65]
	; wave barrier
.LBB78_50:                              ;   in Loop: Header=BB78_14 Depth=1
	scratch_store_dwordx2 off, v[70:71], off offset:68 ; 8-byte Folded Spill
	ds_read_b128 v[38:41], v4
	ds_read_b128 v[34:37], v4 offset:16
	ds_read_b128 v[30:33], v4 offset:32
	;; [unrolled: 1-line block ×5, first 2 shown]
	s_waitcnt lgkmcnt(4)
	v_add_f64 v[0:1], v[38:39], v[34:35]
	v_add_f64 v[2:3], v[40:41], v[36:37]
	s_waitcnt lgkmcnt(3)
	v_add_f64 v[0:1], v[0:1], v[30:31]
	v_add_f64 v[2:3], v[2:3], v[32:33]
	;; [unrolled: 3-line block ×5, first 2 shown]
	ds_read_b128 v[82:85], v4 offset:96
	ds_read_b128 v[70:73], v4 offset:112
	;; [unrolled: 1-line block ×10, first 2 shown]
	s_waitcnt lgkmcnt(9)
	v_add_f64 v[0:1], v[0:1], v[82:83]
	v_add_f64 v[2:3], v[2:3], v[84:85]
	s_waitcnt lgkmcnt(8)
	v_add_f64 v[2:3], v[2:3], v[72:73]
	v_add_f64 v[0:1], v[0:1], v[70:71]
	;; [unrolled: 3-line block ×10, first 2 shown]
	s_nop 0
	v_mov_b32_dpp v2, v52 row_shr:1 row_mask:0xf bank_mask:0xf
	v_mov_b32_dpp v0, v50 row_shr:1 row_mask:0xf bank_mask:0xf
	;; [unrolled: 1-line block ×4, first 2 shown]
	s_barrier
	s_and_saveexec_b64 s[26:27], s[6:7]
; %bb.51:                               ;   in Loop: Header=BB78_14 Depth=1
	v_add_f64 v[52:53], v[52:53], v[2:3]
	v_add_f64 v[50:51], v[50:51], v[0:1]
; %bb.52:                               ;   in Loop: Header=BB78_14 Depth=1
	s_or_b64 exec, exec, s[26:27]
	s_nop 0
	v_mov_b32_dpp v0, v50 row_shr:2 row_mask:0xf bank_mask:0xf
	v_mov_b32_dpp v1, v51 row_shr:2 row_mask:0xf bank_mask:0xf
	v_mov_b32_dpp v2, v52 row_shr:2 row_mask:0xf bank_mask:0xf
	v_mov_b32_dpp v3, v53 row_shr:2 row_mask:0xf bank_mask:0xf
	s_and_saveexec_b64 s[26:27], s[8:9]
; %bb.53:                               ;   in Loop: Header=BB78_14 Depth=1
	v_add_f64 v[52:53], v[52:53], v[2:3]
	v_add_f64 v[50:51], v[50:51], v[0:1]
; %bb.54:                               ;   in Loop: Header=BB78_14 Depth=1
	s_or_b64 exec, exec, s[26:27]
	s_nop 0
	v_mov_b32_dpp v0, v50 row_shr:4 row_mask:0xf bank_mask:0xf
	v_mov_b32_dpp v1, v51 row_shr:4 row_mask:0xf bank_mask:0xf
	v_mov_b32_dpp v2, v52 row_shr:4 row_mask:0xf bank_mask:0xf
	v_mov_b32_dpp v3, v53 row_shr:4 row_mask:0xf bank_mask:0xf
	s_and_saveexec_b64 s[26:27], s[10:11]
; %bb.55:                               ;   in Loop: Header=BB78_14 Depth=1
	v_add_f64 v[52:53], v[52:53], v[2:3]
	v_add_f64 v[50:51], v[50:51], v[0:1]
; %bb.56:                               ;   in Loop: Header=BB78_14 Depth=1
	s_or_b64 exec, exec, s[26:27]
	s_nop 0
	v_mov_b32_dpp v0, v50 row_shr:8 row_mask:0xf bank_mask:0xf
	v_mov_b32_dpp v1, v51 row_shr:8 row_mask:0xf bank_mask:0xf
	v_mov_b32_dpp v2, v52 row_shr:8 row_mask:0xf bank_mask:0xf
	v_mov_b32_dpp v3, v53 row_shr:8 row_mask:0xf bank_mask:0xf
	s_and_saveexec_b64 s[26:27], s[12:13]
; %bb.57:                               ;   in Loop: Header=BB78_14 Depth=1
	v_add_f64 v[52:53], v[52:53], v[2:3]
	v_add_f64 v[50:51], v[50:51], v[0:1]
; %bb.58:                               ;   in Loop: Header=BB78_14 Depth=1
	s_or_b64 exec, exec, s[26:27]
	s_nop 0
	v_mov_b32_dpp v0, v50 row_bcast:15 row_mask:0xf bank_mask:0xf
	v_mov_b32_dpp v1, v51 row_bcast:15 row_mask:0xf bank_mask:0xf
	;; [unrolled: 1-line block ×4, first 2 shown]
	s_and_saveexec_b64 s[26:27], s[14:15]
; %bb.59:                               ;   in Loop: Header=BB78_14 Depth=1
	v_add_f64 v[52:53], v[52:53], v[2:3]
	v_add_f64 v[50:51], v[50:51], v[0:1]
; %bb.60:                               ;   in Loop: Header=BB78_14 Depth=1
	s_or_b64 exec, exec, s[26:27]
	s_nop 0
	v_mov_b32_dpp v0, v50 row_bcast:31 row_mask:0xf bank_mask:0xf
	v_mov_b32_dpp v1, v51 row_bcast:31 row_mask:0xf bank_mask:0xf
	;; [unrolled: 1-line block ×4, first 2 shown]
	s_and_saveexec_b64 s[26:27], s[16:17]
; %bb.61:                               ;   in Loop: Header=BB78_14 Depth=1
	v_add_f64 v[52:53], v[52:53], v[2:3]
	v_add_f64 v[50:51], v[50:51], v[0:1]
; %bb.62:                               ;   in Loop: Header=BB78_14 Depth=1
	s_or_b64 exec, exec, s[26:27]
	s_and_saveexec_b64 s[26:27], s[18:19]
	s_cbranch_execz .LBB78_64
; %bb.63:                               ;   in Loop: Header=BB78_14 Depth=1
	scratch_load_dword v0, off, off offset:220 ; 4-byte Folded Reload
	s_waitcnt vmcnt(0)
	ds_write_b128 v0, v[50:53]
.LBB78_64:                              ;   in Loop: Header=BB78_14 Depth=1
	s_or_b64 exec, exec, s[26:27]
	s_waitcnt lgkmcnt(0)
	s_barrier
	s_and_saveexec_b64 s[26:27], s[20:21]
	s_cbranch_execz .LBB78_68
; %bb.65:                               ;   in Loop: Header=BB78_14 Depth=1
	scratch_load_dword v0, off, off offset:108 ; 4-byte Folded Reload
	s_waitcnt vmcnt(0)
	ds_read_b128 v[58:61], v0
	s_waitcnt lgkmcnt(0)
	s_nop 0
	v_mov_b32_dpp v0, v58 row_shr:1 row_mask:0xf bank_mask:0xf
	v_mov_b32_dpp v1, v59 row_shr:1 row_mask:0xf bank_mask:0xf
	;; [unrolled: 1-line block ×4, first 2 shown]
	s_and_saveexec_b64 s[36:37], s[22:23]
; %bb.66:                               ;   in Loop: Header=BB78_14 Depth=1
	v_add_f64 v[60:61], v[60:61], v[2:3]
	v_add_f64 v[58:59], v[58:59], v[0:1]
; %bb.67:                               ;   in Loop: Header=BB78_14 Depth=1
	s_or_b64 exec, exec, s[36:37]
	scratch_load_dword v0, off, off offset:108 ; 4-byte Folded Reload
	s_waitcnt vmcnt(0)
	ds_write_b128 v0, v[58:61]
.LBB78_68:                              ;   in Loop: Header=BB78_14 Depth=1
	s_or_b64 exec, exec, s[26:27]
	scratch_load_dwordx2 v[0:1], off, off offset:180 ; 8-byte Folded Reload
	v_mov_b64_e32 v[60:61], 0
	v_mov_b64_e32 v[58:59], v[60:61]
	s_waitcnt lgkmcnt(0)
	s_barrier
	s_waitcnt vmcnt(0)
	v_cmp_lt_i64_e32 vcc, s[28:29], v[0:1]
	s_and_saveexec_b64 s[26:27], s[2:3]
	s_cbranch_execz .LBB78_70
; %bb.69:                               ;   in Loop: Header=BB78_14 Depth=1
	scratch_load_dword v0, off, off offset:224 ; 4-byte Folded Reload
	s_waitcnt vmcnt(0)
	ds_read_b128 v[58:61], v0
	s_waitcnt lgkmcnt(0)
	v_add_f64 v[50:51], v[50:51], v[58:59]
	v_add_f64 v[52:53], v[52:53], v[60:61]
.LBB78_70:                              ;   in Loop: Header=BB78_14 Depth=1
	s_or_b64 exec, exec, s[26:27]
	ds_bpermute_b32 v50, v5, v50
	ds_bpermute_b32 v51, v5, v51
	;; [unrolled: 1-line block ×4, first 2 shown]
	s_and_saveexec_b64 s[26:27], s[4:5]
	s_cbranch_execz .LBB78_74
; %bb.71:                               ;   in Loop: Header=BB78_14 Depth=1
	ds_read_b128 v[0:3], v79 offset:16
	s_and_saveexec_b64 s[36:37], s[24:25]
	s_cbranch_execz .LBB78_73
; %bb.72:                               ;   in Loop: Header=BB78_14 Depth=1
	scratch_load_dwordx4 v[66:69], off, off offset:76 ; 16-byte Folded Reload
	s_waitcnt vmcnt(0)
	ds_write_b128 v79, v[66:69] offset:16
.LBB78_73:                              ;   in Loop: Header=BB78_14 Depth=1
	s_or_b64 exec, exec, s[36:37]
	scratch_load_dwordx4 v[66:69], off, off offset:76 ; 16-byte Folded Reload
	s_waitcnt vmcnt(0) lgkmcnt(0)
	v_add_f64 v[66:67], v[66:67], v[0:1]
	v_add_f64 v[68:69], v[68:69], v[2:3]
	scratch_store_dwordx4 off, v[66:69], off offset:76 ; 16-byte Folded Spill
.LBB78_74:                              ;   in Loop: Header=BB78_14 Depth=1
	s_or_b64 exec, exec, s[26:27]
	s_waitcnt lgkmcnt(0)
	s_barrier
	ds_read_b128 v[0:3], v79 offset:16
	v_cndmask_b32_e64 v53, v53, v61, s[0:1]
	v_cndmask_b32_e64 v52, v52, v60, s[0:1]
	;; [unrolled: 1-line block ×4, first 2 shown]
	v_add_f64 v[50:51], v[50:51], v[38:39]
	v_add_f64 v[52:53], v[52:53], v[40:41]
	v_cndmask_b32_e64 v41, v53, v41, s[24:25]
	v_cndmask_b32_e64 v40, v52, v40, s[24:25]
	;; [unrolled: 1-line block ×4, first 2 shown]
	s_waitcnt lgkmcnt(0)
	v_add_f64 v[86:87], v[0:1], v[38:39]
	v_add_f64 v[88:89], v[2:3], v[40:41]
	scratch_store_dwordx2 off, v[78:79], off offset:60 ; 8-byte Folded Spill
	v_add_f64 v[78:79], v[86:87], v[34:35]
	v_add_f64 v[80:81], v[88:89], v[36:37]
	;; [unrolled: 1-line block ×30, first 2 shown]
	s_and_b64 vcc, exec, vcc
	v_lshl_add_u64 v[126:127], v[92:93], 0, v[90:91]
	s_barrier
	scratch_store_dwordx2 off, v[92:93], off offset:100 ; 8-byte Folded Spill
	s_cbranch_vccz .LBB78_110
; %bb.75:                               ;   in Loop: Header=BB78_14 Depth=1
	ds_write_b128 v4, v[86:89]
	ds_write_b128 v4, v[78:81] offset:16
	ds_write_b128 v4, v[66:69] offset:32
	;; [unrolled: 1-line block ×15, first 2 shown]
	; wave barrier
	scratch_load_dword v62, off, off offset:96 ; 4-byte Folded Reload
	scratch_load_dword v0, off, off         ; 4-byte Folded Reload
	scratch_load_dword v54, off, off offset:4 ; 4-byte Folded Reload
	s_waitcnt vmcnt(2)
	v_cmp_gt_u32_e32 vcc, s28, v62
	scratch_load_dword v62, off, off offset:40 ; 4-byte Folded Reload
	s_waitcnt vmcnt(2)
	ds_read_b128 v[0:3], v0
	s_waitcnt vmcnt(1)
	ds_read_b128 v[122:125], v54
	scratch_load_dword v54, off, off offset:8 ; 4-byte Folded Reload
	s_waitcnt vmcnt(1)
	ds_read_b128 v[82:85], v62
	scratch_load_dword v62, off, off offset:44 ; 4-byte Folded Reload
	s_waitcnt vmcnt(1)
	ds_read_b128 v[118:121], v54
	s_waitcnt vmcnt(0)
	ds_read_b128 v[74:77], v62
	scratch_load_dword v54, off, off offset:12 ; 4-byte Folded Reload
	scratch_load_dword v62, off, off offset:48 ; 4-byte Folded Reload
	s_waitcnt vmcnt(1)
	ds_read_b128 v[114:117], v54
	s_waitcnt vmcnt(0)
	ds_read_b128 v[70:73], v62
	scratch_load_dword v54, off, off offset:16 ; 4-byte Folded Reload
	;; [unrolled: 6-line block ×3, first 2 shown]
	s_waitcnt vmcnt(0)
	ds_read_b128 v[106:109], v54
	scratch_load_dword v54, off, off offset:24 ; 4-byte Folded Reload
	s_waitcnt vmcnt(0)
	ds_read_b128 v[102:105], v54
	scratch_load_dword v54, off, off offset:28 ; 4-byte Folded Reload
	s_waitcnt vmcnt(0)
	ds_read_b128 v[98:101], v54
	scratch_load_dword v54, off, off offset:32 ; 4-byte Folded Reload
	s_waitcnt vmcnt(0)
	ds_read_b128 v[94:97], v54
	scratch_load_dword v54, off, off offset:36 ; 4-byte Folded Reload
	s_waitcnt vmcnt(0)
	ds_read_b128 v[90:93], v54
	scratch_load_dword v54, off, off offset:56 ; 4-byte Folded Reload
	s_waitcnt vmcnt(0)
	ds_read_b128 v[54:57], v54
	s_waitcnt lgkmcnt(6)
	scratch_store_dwordx4 off, v[62:65], off offset:204 ; 16-byte Folded Spill
	s_and_saveexec_b64 s[26:27], vcc
	s_cbranch_execz .LBB78_77
; %bb.76:                               ;   in Loop: Header=BB78_14 Depth=1
	scratch_load_dword v62, off, off offset:92 ; 4-byte Folded Reload
	s_waitcnt vmcnt(0)
	ds_read_b128 v[62:65], v62
	s_waitcnt lgkmcnt(0)
	global_store_dwordx4 v[126:127], v[62:65], off
.LBB78_77:                              ;   in Loop: Header=BB78_14 Depth=1
	s_or_b64 exec, exec, s[26:27]
	scratch_load_dword v62, off, off offset:112 ; 4-byte Folded Reload
	s_waitcnt vmcnt(0)
	v_cmp_gt_u32_e32 vcc, s28, v62
	s_and_saveexec_b64 s[26:27], vcc
	s_cbranch_execz .LBB78_79
; %bb.78:                               ;   in Loop: Header=BB78_14 Depth=1
	global_store_dwordx4 v[126:127], v[0:3], off offset:1024
.LBB78_79:                              ;   in Loop: Header=BB78_14 Depth=1
	s_or_b64 exec, exec, s[26:27]
	scratch_load_dword v0, off, off offset:116 ; 4-byte Folded Reload
	s_waitcnt vmcnt(0)
	v_cmp_gt_u32_e32 vcc, s28, v0
	s_and_saveexec_b64 s[26:27], vcc
	s_cbranch_execz .LBB78_81
; %bb.80:                               ;   in Loop: Header=BB78_14 Depth=1
	global_store_dwordx4 v[126:127], v[122:125], off offset:2048
.LBB78_81:                              ;   in Loop: Header=BB78_14 Depth=1
	;; [unrolled: 9-line block ×3, first 2 shown]
	s_or_b64 exec, exec, s[26:27]
	scratch_load_dword v0, off, off offset:124 ; 4-byte Folded Reload
	s_waitcnt vmcnt(0)
	v_cmp_gt_u32_e32 vcc, s28, v0
	s_and_saveexec_b64 s[26:27], vcc
	s_cbranch_execz .LBB78_85
; %bb.84:                               ;   in Loop: Header=BB78_14 Depth=1
	v_add_co_u32_e32 v0, vcc, 0x1000, v126
	s_nop 1
	v_addc_co_u32_e32 v1, vcc, 0, v127, vcc
	global_store_dwordx4 v[0:1], v[114:117], off
.LBB78_85:                              ;   in Loop: Header=BB78_14 Depth=1
	s_or_b64 exec, exec, s[26:27]
	scratch_load_dword v0, off, off offset:128 ; 4-byte Folded Reload
	s_waitcnt vmcnt(0)
	v_cmp_gt_u32_e32 vcc, s28, v0
	s_and_saveexec_b64 s[26:27], vcc
	s_cbranch_execz .LBB78_87
; %bb.86:                               ;   in Loop: Header=BB78_14 Depth=1
	v_add_co_u32_e32 v0, vcc, 0x1000, v126
	s_nop 1
	v_addc_co_u32_e32 v1, vcc, 0, v127, vcc
	global_store_dwordx4 v[0:1], v[110:113], off offset:1024
.LBB78_87:                              ;   in Loop: Header=BB78_14 Depth=1
	s_or_b64 exec, exec, s[26:27]
	scratch_load_dword v0, off, off offset:132 ; 4-byte Folded Reload
	s_waitcnt vmcnt(0)
	v_cmp_gt_u32_e32 vcc, s28, v0
	s_and_saveexec_b64 s[26:27], vcc
	s_cbranch_execz .LBB78_89
; %bb.88:                               ;   in Loop: Header=BB78_14 Depth=1
	v_add_co_u32_e32 v0, vcc, 0x1000, v126
	s_nop 1
	v_addc_co_u32_e32 v1, vcc, 0, v127, vcc
	s_waitcnt lgkmcnt(5)
	global_store_dwordx4 v[0:1], v[106:109], off offset:2048
.LBB78_89:                              ;   in Loop: Header=BB78_14 Depth=1
	s_or_b64 exec, exec, s[26:27]
	scratch_load_dword v0, off, off offset:136 ; 4-byte Folded Reload
	s_waitcnt vmcnt(0)
	v_cmp_gt_u32_e32 vcc, s28, v0
	s_and_saveexec_b64 s[26:27], vcc
	s_cbranch_execz .LBB78_91
; %bb.90:                               ;   in Loop: Header=BB78_14 Depth=1
	v_add_co_u32_e32 v0, vcc, 0x1000, v126
	s_nop 1
	v_addc_co_u32_e32 v1, vcc, 0, v127, vcc
	s_waitcnt lgkmcnt(4)
	global_store_dwordx4 v[0:1], v[102:105], off offset:3072
.LBB78_91:                              ;   in Loop: Header=BB78_14 Depth=1
	s_or_b64 exec, exec, s[26:27]
	scratch_load_dword v0, off, off offset:140 ; 4-byte Folded Reload
	s_waitcnt vmcnt(0)
	v_cmp_gt_u32_e32 vcc, s28, v0
	s_and_saveexec_b64 s[26:27], vcc
	s_cbranch_execz .LBB78_93
; %bb.92:                               ;   in Loop: Header=BB78_14 Depth=1
	v_add_co_u32_e32 v0, vcc, 0x2000, v126
	s_nop 1
	v_addc_co_u32_e32 v1, vcc, 0, v127, vcc
	s_waitcnt lgkmcnt(3)
	global_store_dwordx4 v[0:1], v[98:101], off
.LBB78_93:                              ;   in Loop: Header=BB78_14 Depth=1
	s_or_b64 exec, exec, s[26:27]
	scratch_load_dword v0, off, off offset:144 ; 4-byte Folded Reload
	s_waitcnt vmcnt(0)
	v_cmp_gt_u32_e32 vcc, s28, v0
	s_and_saveexec_b64 s[26:27], vcc
	s_cbranch_execz .LBB78_95
; %bb.94:                               ;   in Loop: Header=BB78_14 Depth=1
	v_add_co_u32_e32 v0, vcc, 0x2000, v126
	s_nop 1
	v_addc_co_u32_e32 v1, vcc, 0, v127, vcc
	s_waitcnt lgkmcnt(2)
	global_store_dwordx4 v[0:1], v[94:97], off offset:1024
.LBB78_95:                              ;   in Loop: Header=BB78_14 Depth=1
	s_or_b64 exec, exec, s[26:27]
	scratch_load_dword v0, off, off offset:148 ; 4-byte Folded Reload
	s_waitcnt vmcnt(0)
	v_cmp_gt_u32_e32 vcc, s28, v0
	s_and_saveexec_b64 s[26:27], vcc
	s_cbranch_execz .LBB78_97
; %bb.96:                               ;   in Loop: Header=BB78_14 Depth=1
	v_add_co_u32_e32 v0, vcc, 0x2000, v126
	s_nop 1
	v_addc_co_u32_e32 v1, vcc, 0, v127, vcc
	s_waitcnt lgkmcnt(1)
	global_store_dwordx4 v[0:1], v[90:93], off offset:2048
.LBB78_97:                              ;   in Loop: Header=BB78_14 Depth=1
	s_or_b64 exec, exec, s[26:27]
	scratch_load_dword v0, off, off offset:152 ; 4-byte Folded Reload
	s_waitcnt vmcnt(0)
	v_cmp_gt_u32_e32 vcc, s28, v0
	s_and_saveexec_b64 s[26:27], vcc
	s_cbranch_execz .LBB78_99
; %bb.98:                               ;   in Loop: Header=BB78_14 Depth=1
	v_add_co_u32_e32 v0, vcc, 0x2000, v126
	s_nop 1
	v_addc_co_u32_e32 v1, vcc, 0, v127, vcc
	global_store_dwordx4 v[0:1], v[82:85], off offset:3072
.LBB78_99:                              ;   in Loop: Header=BB78_14 Depth=1
	s_or_b64 exec, exec, s[26:27]
	scratch_load_dword v0, off, off offset:156 ; 4-byte Folded Reload
	s_waitcnt vmcnt(0)
	v_cmp_gt_u32_e32 vcc, s28, v0
	s_and_saveexec_b64 s[26:27], vcc
	s_cbranch_execz .LBB78_101
; %bb.100:                              ;   in Loop: Header=BB78_14 Depth=1
	v_add_co_u32_e32 v0, vcc, 0x3000, v126
	s_nop 1
	v_addc_co_u32_e32 v1, vcc, 0, v127, vcc
	global_store_dwordx4 v[0:1], v[74:77], off
.LBB78_101:                             ;   in Loop: Header=BB78_14 Depth=1
	s_or_b64 exec, exec, s[26:27]
	scratch_load_dword v0, off, off offset:160 ; 4-byte Folded Reload
	s_waitcnt vmcnt(0)
	v_cmp_gt_u32_e32 vcc, s28, v0
	s_and_saveexec_b64 s[26:27], vcc
	s_cbranch_execz .LBB78_103
; %bb.102:                              ;   in Loop: Header=BB78_14 Depth=1
	v_add_co_u32_e32 v0, vcc, 0x3000, v126
	s_nop 1
	v_addc_co_u32_e32 v1, vcc, 0, v127, vcc
	global_store_dwordx4 v[0:1], v[70:73], off offset:1024
.LBB78_103:                             ;   in Loop: Header=BB78_14 Depth=1
	s_or_b64 exec, exec, s[26:27]
	scratch_load_dword v0, off, off offset:164 ; 4-byte Folded Reload
	s_waitcnt vmcnt(0)
	v_cmp_gt_u32_e32 vcc, s28, v0
	s_and_saveexec_b64 s[26:27], vcc
	s_cbranch_execz .LBB78_105
; %bb.104:                              ;   in Loop: Header=BB78_14 Depth=1
	scratch_load_dwordx4 v[62:65], off, off offset:204 ; 16-byte Folded Reload
	v_add_co_u32_e32 v0, vcc, 0x3000, v126
	s_nop 1
	v_addc_co_u32_e32 v1, vcc, 0, v127, vcc
	s_waitcnt vmcnt(0)
	global_store_dwordx4 v[0:1], v[62:65], off offset:2048
.LBB78_105:                             ;   in Loop: Header=BB78_14 Depth=1
	s_or_b64 exec, exec, s[26:27]
	scratch_load_dword v0, off, off offset:168 ; 4-byte Folded Reload
	s_waitcnt vmcnt(0)
	v_cmp_gt_u32_e64 s[26:27], s28, v0
	s_branch .LBB78_111
.LBB78_106:                             ;   in Loop: Header=BB78_14 Depth=1
	ds_write_b128 v4, v[86:89]
	ds_write_b128 v4, v[78:81] offset:16
	ds_write_b128 v4, v[66:69] offset:32
	;; [unrolled: 1-line block ×15, first 2 shown]
	; wave barrier
	scratch_load_dword v38, off, off offset:32 ; 4-byte Folded Reload
	scratch_load_dword v42, off, off offset:36 ; 4-byte Folded Reload
	;; [unrolled: 1-line block ×4, first 2 shown]
	s_waitcnt lgkmcnt(14)
	scratch_load_dword v54, off, off offset:48 ; 4-byte Folded Reload
	scratch_load_dwordx2 v[78:79], off, off offset:60 ; 8-byte Folded Reload
	scratch_load_dword v0, off, off offset:92 ; 4-byte Folded Reload
	scratch_load_dword v6, off, off         ; 4-byte Folded Reload
	scratch_load_dword v10, off, off offset:4 ; 4-byte Folded Reload
	scratch_load_dword v14, off, off offset:8 ; 4-byte Folded Reload
	;; [unrolled: 1-line block ×7, first 2 shown]
	s_or_b64 s[26:27], s[26:27], exec
	scratch_load_dwordx2 v[68:69], off, off offset:196 ; 8-byte Folded Reload
	s_waitcnt vmcnt(15)
	ds_read_b128 v[38:41], v38
	s_waitcnt vmcnt(14)
	ds_read_b128 v[42:45], v42
	;; [unrolled: 2-line block ×5, first 2 shown]
	scratch_load_dword v54, off, off offset:52 ; 4-byte Folded Reload
	s_waitcnt vmcnt(10)
	ds_read_b128 v[0:3], v0
	s_waitcnt vmcnt(9)
	ds_read_b128 v[6:9], v6
	;; [unrolled: 2-line block ×9, first 2 shown]
	v_lshl_add_u64 v[66:67], s[30:31], 0, v[78:79]
	s_waitcnt vmcnt(1)
	v_mov_b32_e32 v69, v79
	v_mov_b32_e32 v70, v68
	v_lshl_add_u64 v[66:67], v[66:67], 0, v[68:69]
	scratch_store_dwordx2 off, v[70:71], off offset:196 ; 8-byte Folded Spill
	s_waitcnt vmcnt(1)
	ds_read_b128 v[62:65], v54
	scratch_load_dword v54, off, off offset:56 ; 4-byte Folded Reload
	s_waitcnt vmcnt(0)
	ds_read_b128 v[54:57], v54
	s_waitcnt lgkmcnt(10)
	global_store_dwordx4 v[126:127], v[0:3], off
	s_waitcnt lgkmcnt(9)
	global_store_dwordx4 v[126:127], v[6:9], off offset:1024
	s_waitcnt lgkmcnt(8)
	global_store_dwordx4 v[126:127], v[10:13], off offset:2048
	;; [unrolled: 2-line block ×3, first 2 shown]
	v_add_co_u32_e32 v0, vcc, s38, v126
	s_nop 1
	v_addc_co_u32_e32 v1, vcc, 0, v127, vcc
	s_waitcnt lgkmcnt(6)
	global_store_dwordx4 v[0:1], v[18:21], off
	s_waitcnt lgkmcnt(5)
	global_store_dwordx4 v[0:1], v[22:25], off offset:1024
	s_waitcnt lgkmcnt(4)
	global_store_dwordx4 v[0:1], v[26:29], off offset:2048
	;; [unrolled: 2-line block ×3, first 2 shown]
	v_add_co_u32_e32 v0, vcc, 0x2000, v126
	s_nop 1
	v_addc_co_u32_e32 v1, vcc, 0, v127, vcc
	s_waitcnt lgkmcnt(2)
	global_store_dwordx4 v[0:1], v[34:37], off
	global_store_dwordx4 v[0:1], v[38:41], off offset:1024
	global_store_dwordx4 v[0:1], v[42:45], off offset:2048
	;; [unrolled: 1-line block ×3, first 2 shown]
	v_add_co_u32_e32 v0, vcc, 0x3000, v126
	s_nop 1
	v_addc_co_u32_e32 v1, vcc, 0, v127, vcc
	v_mov_b64_e32 v[126:127], v[66:67]
	global_store_dwordx4 v[0:1], v[50:53], off
	global_store_dwordx4 v[0:1], v[58:61], off offset:1024
	s_waitcnt lgkmcnt(1)
	global_store_dwordx4 v[0:1], v[62:65], off offset:2048
	scratch_load_dwordx2 v[70:71], off, off offset:68 ; 8-byte Folded Reload
	s_and_saveexec_b64 s[36:37], s[26:27]
	s_cbranch_execz .LBB78_108
.LBB78_107:                             ;   in Loop: Header=BB78_14 Depth=1
	v_add_co_u32_e32 v0, vcc, 0x3000, v126
	s_nop 1
	v_addc_co_u32_e32 v1, vcc, 0, v127, vcc
	s_waitcnt lgkmcnt(0)
	global_store_dwordx4 v[0:1], v[54:57], off offset:3072
.LBB78_108:                             ;   in Loop: Header=BB78_14 Depth=1
	s_or_b64 exec, exec, s[36:37]
	v_mov_b64_e32 v[0:1], 0x801
	v_cmp_lt_i64_e32 vcc, s[28:29], v[0:1]
	s_cbranch_vccz .LBB78_13
; %bb.109:
                                        ; implicit-def: $vgpr0_vgpr1
	scratch_store_dwordx4 off, v[0:3], off offset:76 ; 16-byte Folded Spill
                                        ; implicit-def: $sgpr28_sgpr29
                                        ; implicit-def: $sgpr30_sgpr31
                                        ; implicit-def: $sgpr33
                                        ; implicit-def: $vgpr70_vgpr71
                                        ; implicit-def: $vgpr92_vgpr93
	s_waitcnt lgkmcnt(1)
	scratch_load_dwordx2 v[90:91], off, off offset:172 ; 8-byte Folded Reload
	s_branch .LBB78_112
.LBB78_110:                             ;   in Loop: Header=BB78_14 Depth=1
	s_mov_b64 s[26:27], 0
                                        ; implicit-def: $vgpr56_vgpr57
	s_cbranch_execnz .LBB78_106
.LBB78_111:                             ;   in Loop: Header=BB78_14 Depth=1
	scratch_load_dwordx2 v[78:79], off, off offset:60 ; 8-byte Folded Reload
	scratch_load_dwordx2 v[70:71], off, off offset:68 ; 8-byte Folded Reload
	s_and_saveexec_b64 s[36:37], s[26:27]
	s_cbranch_execnz .LBB78_107
	s_branch .LBB78_108
.LBB78_112:
	s_endpgm
	.section	.rodata,"a",@progbits
	.p2align	6, 0x0
	.amdhsa_kernel _ZN2at4cuda3cub17final_scan_kernelILi128ELi16EN3c107complexIdEEEEvPKT1_PS6_S9_li
		.amdhsa_group_segment_fixed_size 33792
		.amdhsa_private_segment_fixed_size 232
		.amdhsa_kernarg_size 296
		.amdhsa_user_sgpr_count 2
		.amdhsa_user_sgpr_dispatch_ptr 0
		.amdhsa_user_sgpr_queue_ptr 0
		.amdhsa_user_sgpr_kernarg_segment_ptr 1
		.amdhsa_user_sgpr_dispatch_id 0
		.amdhsa_user_sgpr_kernarg_preload_length 0
		.amdhsa_user_sgpr_kernarg_preload_offset 0
		.amdhsa_user_sgpr_private_segment_size 0
		.amdhsa_uses_dynamic_stack 0
		.amdhsa_enable_private_segment 1
		.amdhsa_system_sgpr_workgroup_id_x 1
		.amdhsa_system_sgpr_workgroup_id_y 0
		.amdhsa_system_sgpr_workgroup_id_z 0
		.amdhsa_system_sgpr_workgroup_info 0
		.amdhsa_system_vgpr_workitem_id 0
		.amdhsa_next_free_vgpr 128
		.amdhsa_next_free_sgpr 44
		.amdhsa_accum_offset 128
		.amdhsa_reserve_vcc 1
		.amdhsa_float_round_mode_32 0
		.amdhsa_float_round_mode_16_64 0
		.amdhsa_float_denorm_mode_32 3
		.amdhsa_float_denorm_mode_16_64 3
		.amdhsa_dx10_clamp 1
		.amdhsa_ieee_mode 1
		.amdhsa_fp16_overflow 0
		.amdhsa_tg_split 0
		.amdhsa_exception_fp_ieee_invalid_op 0
		.amdhsa_exception_fp_denorm_src 0
		.amdhsa_exception_fp_ieee_div_zero 0
		.amdhsa_exception_fp_ieee_overflow 0
		.amdhsa_exception_fp_ieee_underflow 0
		.amdhsa_exception_fp_ieee_inexact 0
		.amdhsa_exception_int_div_zero 0
	.end_amdhsa_kernel
	.section	.text._ZN2at4cuda3cub17final_scan_kernelILi128ELi16EN3c107complexIdEEEEvPKT1_PS6_S9_li,"axG",@progbits,_ZN2at4cuda3cub17final_scan_kernelILi128ELi16EN3c107complexIdEEEEvPKT1_PS6_S9_li,comdat
.Lfunc_end78:
	.size	_ZN2at4cuda3cub17final_scan_kernelILi128ELi16EN3c107complexIdEEEEvPKT1_PS6_S9_li, .Lfunc_end78-_ZN2at4cuda3cub17final_scan_kernelILi128ELi16EN3c107complexIdEEEEvPKT1_PS6_S9_li
                                        ; -- End function
	.section	.AMDGPU.csdata,"",@progbits
; Kernel info:
; codeLenInByte = 7164
; NumSgprs: 50
; NumVgprs: 128
; NumAgprs: 0
; TotalNumVgprs: 128
; ScratchSize: 232
; MemoryBound: 1
; FloatMode: 240
; IeeeMode: 1
; LDSByteSize: 33792 bytes/workgroup (compile time only)
; SGPRBlocks: 6
; VGPRBlocks: 15
; NumSGPRsForWavesPerEU: 50
; NumVGPRsForWavesPerEU: 128
; AccumOffset: 128
; Occupancy: 4
; WaveLimiterHint : 1
; COMPUTE_PGM_RSRC2:SCRATCH_EN: 1
; COMPUTE_PGM_RSRC2:USER_SGPR: 2
; COMPUTE_PGM_RSRC2:TRAP_HANDLER: 0
; COMPUTE_PGM_RSRC2:TGID_X_EN: 1
; COMPUTE_PGM_RSRC2:TGID_Y_EN: 0
; COMPUTE_PGM_RSRC2:TGID_Z_EN: 0
; COMPUTE_PGM_RSRC2:TIDIG_COMP_CNT: 0
; COMPUTE_PGM_RSRC3_GFX90A:ACCUM_OFFSET: 31
; COMPUTE_PGM_RSRC3_GFX90A:TG_SPLIT: 0
	.section	.text._ZN7rocprim17ROCPRIM_304000_NS6detail31init_lookback_scan_state_kernelINS1_19lookback_scan_stateIN3c107complexIdEELb1ELb0EEEEEvT_jjPNS8_10value_typeE,"axG",@progbits,_ZN7rocprim17ROCPRIM_304000_NS6detail31init_lookback_scan_state_kernelINS1_19lookback_scan_stateIN3c107complexIdEELb1ELb0EEEEEvT_jjPNS8_10value_typeE,comdat
	.protected	_ZN7rocprim17ROCPRIM_304000_NS6detail31init_lookback_scan_state_kernelINS1_19lookback_scan_stateIN3c107complexIdEELb1ELb0EEEEEvT_jjPNS8_10value_typeE ; -- Begin function _ZN7rocprim17ROCPRIM_304000_NS6detail31init_lookback_scan_state_kernelINS1_19lookback_scan_stateIN3c107complexIdEELb1ELb0EEEEEvT_jjPNS8_10value_typeE
	.globl	_ZN7rocprim17ROCPRIM_304000_NS6detail31init_lookback_scan_state_kernelINS1_19lookback_scan_stateIN3c107complexIdEELb1ELb0EEEEEvT_jjPNS8_10value_typeE
	.p2align	8
	.type	_ZN7rocprim17ROCPRIM_304000_NS6detail31init_lookback_scan_state_kernelINS1_19lookback_scan_stateIN3c107complexIdEELb1ELb0EEEEEvT_jjPNS8_10value_typeE,@function
_ZN7rocprim17ROCPRIM_304000_NS6detail31init_lookback_scan_state_kernelINS1_19lookback_scan_stateIN3c107complexIdEELb1ELb0EEEEEvT_jjPNS8_10value_typeE: ; @_ZN7rocprim17ROCPRIM_304000_NS6detail31init_lookback_scan_state_kernelINS1_19lookback_scan_stateIN3c107complexIdEELb1ELb0EEEEEvT_jjPNS8_10value_typeE
; %bb.0:
	s_load_dword s3, s[0:1], 0x34
	s_load_dwordx2 s[8:9], s[0:1], 0x20
	s_load_dwordx4 s[4:7], s[0:1], 0x10
	s_waitcnt lgkmcnt(0)
	s_and_b32 s3, s3, 0xffff
	s_mul_i32 s2, s2, s3
	s_cmp_eq_u64 s[8:9], 0
	v_add_u32_e32 v0, s2, v0
	s_cbranch_scc1 .LBB79_11
; %bb.1:
	s_cmp_lt_u32 s7, s6
	s_cselect_b32 s2, s7, 0
	s_mov_b32 s13, 0
	v_cmp_eq_u32_e32 vcc, s2, v0
	s_and_saveexec_b64 s[10:11], vcc
	s_cbranch_execz .LBB79_10
; %bb.2:
	s_add_i32 s12, s7, 64
	v_mov_b32_e32 v1, s12
	global_load_ubyte v1, v1, s[4:5] sc1
	s_load_dwordx4 s[0:3], s[0:1], 0x0
	s_add_u32 s14, s4, s12
	s_addc_u32 s15, s5, 0
	s_waitcnt vmcnt(0)
	v_cmp_ne_u16_e32 vcc, 0, v1
	v_readfirstlane_b32 s7, v1
	s_cbranch_vccz .LBB79_4
; %bb.3:
	s_and_b32 s7, 0xffff, s7
	s_branch .LBB79_9
.LBB79_4:
	s_mov_b32 s7, 1
	v_mov_b32_e32 v1, 0
.LBB79_5:                               ; =>This Loop Header: Depth=1
                                        ;     Child Loop BB79_6 Depth 2
	s_max_u32 s16, s7, 1
.LBB79_6:                               ;   Parent Loop BB79_5 Depth=1
                                        ; =>  This Inner Loop Header: Depth=2
	s_add_i32 s16, s16, -1
	s_cmp_eq_u32 s16, 0
	s_sleep 1
	s_cbranch_scc0 .LBB79_6
; %bb.7:                                ;   in Loop: Header=BB79_5 Depth=1
	global_load_ubyte v2, v1, s[14:15] sc1
	s_cmp_lt_u32 s7, 32
	s_cselect_b64 s[16:17], -1, 0
	s_cmp_lg_u64 s[16:17], 0
	s_addc_u32 s7, s7, 0
	s_waitcnt vmcnt(0)
	v_cmp_ne_u16_e32 vcc, 0, v2
	v_readfirstlane_b32 s16, v2
	s_cbranch_vccz .LBB79_5
; %bb.8:
	s_and_b32 s7, 0xffff, s16
.LBB79_9:
	s_cmp_eq_u32 s7, 1
	s_waitcnt lgkmcnt(0)
	s_cselect_b32 s3, s1, s3
	s_cselect_b32 s2, s0, s2
	s_lshl_b64 s[0:1], s[12:13], 4
	s_add_u32 s0, s2, s0
	s_addc_u32 s1, s3, s1
	v_mov_b32_e32 v1, 0
	s_waitcnt vmcnt(0)
	global_load_dword v2, v1, s[0:1] sc1
	global_load_dword v3, v1, s[0:1] offset:4 sc1
	global_load_dword v4, v1, s[0:1] offset:8 sc1
	;; [unrolled: 1-line block ×3, first 2 shown]
	s_waitcnt vmcnt(0)
	global_store_dwordx4 v1, v[2:5], s[8:9]
.LBB79_10:
	s_or_b64 exec, exec, s[10:11]
.LBB79_11:
	v_cmp_gt_u32_e32 vcc, s6, v0
	s_and_saveexec_b64 s[0:1], vcc
	s_cbranch_execnz .LBB79_14
; %bb.12:
	s_or_b64 exec, exec, s[0:1]
	v_cmp_gt_u32_e32 vcc, 64, v0
	s_and_saveexec_b64 s[0:1], vcc
	s_cbranch_execnz .LBB79_15
.LBB79_13:
	s_endpgm
.LBB79_14:
	v_add_u32_e32 v1, 64, v0
	v_mov_b32_e32 v2, 0
	global_store_byte v1, v2, s[4:5]
	s_or_b64 exec, exec, s[0:1]
	v_cmp_gt_u32_e32 vcc, 64, v0
	s_and_saveexec_b64 s[0:1], vcc
	s_cbranch_execz .LBB79_13
.LBB79_15:
	v_mov_b32_e32 v1, 0xff
	global_store_byte v0, v1, s[4:5]
	s_endpgm
	.section	.rodata,"a",@progbits
	.p2align	6, 0x0
	.amdhsa_kernel _ZN7rocprim17ROCPRIM_304000_NS6detail31init_lookback_scan_state_kernelINS1_19lookback_scan_stateIN3c107complexIdEELb1ELb0EEEEEvT_jjPNS8_10value_typeE
		.amdhsa_group_segment_fixed_size 0
		.amdhsa_private_segment_fixed_size 0
		.amdhsa_kernarg_size 296
		.amdhsa_user_sgpr_count 2
		.amdhsa_user_sgpr_dispatch_ptr 0
		.amdhsa_user_sgpr_queue_ptr 0
		.amdhsa_user_sgpr_kernarg_segment_ptr 1
		.amdhsa_user_sgpr_dispatch_id 0
		.amdhsa_user_sgpr_kernarg_preload_length 0
		.amdhsa_user_sgpr_kernarg_preload_offset 0
		.amdhsa_user_sgpr_private_segment_size 0
		.amdhsa_uses_dynamic_stack 0
		.amdhsa_enable_private_segment 0
		.amdhsa_system_sgpr_workgroup_id_x 1
		.amdhsa_system_sgpr_workgroup_id_y 0
		.amdhsa_system_sgpr_workgroup_id_z 0
		.amdhsa_system_sgpr_workgroup_info 0
		.amdhsa_system_vgpr_workitem_id 0
		.amdhsa_next_free_vgpr 6
		.amdhsa_next_free_sgpr 18
		.amdhsa_accum_offset 8
		.amdhsa_reserve_vcc 1
		.amdhsa_float_round_mode_32 0
		.amdhsa_float_round_mode_16_64 0
		.amdhsa_float_denorm_mode_32 3
		.amdhsa_float_denorm_mode_16_64 3
		.amdhsa_dx10_clamp 1
		.amdhsa_ieee_mode 1
		.amdhsa_fp16_overflow 0
		.amdhsa_tg_split 0
		.amdhsa_exception_fp_ieee_invalid_op 0
		.amdhsa_exception_fp_denorm_src 0
		.amdhsa_exception_fp_ieee_div_zero 0
		.amdhsa_exception_fp_ieee_overflow 0
		.amdhsa_exception_fp_ieee_underflow 0
		.amdhsa_exception_fp_ieee_inexact 0
		.amdhsa_exception_int_div_zero 0
	.end_amdhsa_kernel
	.section	.text._ZN7rocprim17ROCPRIM_304000_NS6detail31init_lookback_scan_state_kernelINS1_19lookback_scan_stateIN3c107complexIdEELb1ELb0EEEEEvT_jjPNS8_10value_typeE,"axG",@progbits,_ZN7rocprim17ROCPRIM_304000_NS6detail31init_lookback_scan_state_kernelINS1_19lookback_scan_stateIN3c107complexIdEELb1ELb0EEEEEvT_jjPNS8_10value_typeE,comdat
.Lfunc_end79:
	.size	_ZN7rocprim17ROCPRIM_304000_NS6detail31init_lookback_scan_state_kernelINS1_19lookback_scan_stateIN3c107complexIdEELb1ELb0EEEEEvT_jjPNS8_10value_typeE, .Lfunc_end79-_ZN7rocprim17ROCPRIM_304000_NS6detail31init_lookback_scan_state_kernelINS1_19lookback_scan_stateIN3c107complexIdEELb1ELb0EEEEEvT_jjPNS8_10value_typeE
                                        ; -- End function
	.section	.AMDGPU.csdata,"",@progbits
; Kernel info:
; codeLenInByte = 380
; NumSgprs: 24
; NumVgprs: 6
; NumAgprs: 0
; TotalNumVgprs: 6
; ScratchSize: 0
; MemoryBound: 0
; FloatMode: 240
; IeeeMode: 1
; LDSByteSize: 0 bytes/workgroup (compile time only)
; SGPRBlocks: 2
; VGPRBlocks: 0
; NumSGPRsForWavesPerEU: 24
; NumVGPRsForWavesPerEU: 6
; AccumOffset: 8
; Occupancy: 8
; WaveLimiterHint : 0
; COMPUTE_PGM_RSRC2:SCRATCH_EN: 0
; COMPUTE_PGM_RSRC2:USER_SGPR: 2
; COMPUTE_PGM_RSRC2:TRAP_HANDLER: 0
; COMPUTE_PGM_RSRC2:TGID_X_EN: 1
; COMPUTE_PGM_RSRC2:TGID_Y_EN: 0
; COMPUTE_PGM_RSRC2:TGID_Z_EN: 0
; COMPUTE_PGM_RSRC2:TIDIG_COMP_CNT: 0
; COMPUTE_PGM_RSRC3_GFX90A:ACCUM_OFFSET: 1
; COMPUTE_PGM_RSRC3_GFX90A:TG_SPLIT: 0
	.section	.text._ZN7rocprim17ROCPRIM_304000_NS6detail31init_lookback_scan_state_kernelINS1_19lookback_scan_stateIN3c107complexIdEELb0ELb0EEEEEvT_jjPNS8_10value_typeE,"axG",@progbits,_ZN7rocprim17ROCPRIM_304000_NS6detail31init_lookback_scan_state_kernelINS1_19lookback_scan_stateIN3c107complexIdEELb0ELb0EEEEEvT_jjPNS8_10value_typeE,comdat
	.protected	_ZN7rocprim17ROCPRIM_304000_NS6detail31init_lookback_scan_state_kernelINS1_19lookback_scan_stateIN3c107complexIdEELb0ELb0EEEEEvT_jjPNS8_10value_typeE ; -- Begin function _ZN7rocprim17ROCPRIM_304000_NS6detail31init_lookback_scan_state_kernelINS1_19lookback_scan_stateIN3c107complexIdEELb0ELb0EEEEEvT_jjPNS8_10value_typeE
	.globl	_ZN7rocprim17ROCPRIM_304000_NS6detail31init_lookback_scan_state_kernelINS1_19lookback_scan_stateIN3c107complexIdEELb0ELb0EEEEEvT_jjPNS8_10value_typeE
	.p2align	8
	.type	_ZN7rocprim17ROCPRIM_304000_NS6detail31init_lookback_scan_state_kernelINS1_19lookback_scan_stateIN3c107complexIdEELb0ELb0EEEEEvT_jjPNS8_10value_typeE,@function
_ZN7rocprim17ROCPRIM_304000_NS6detail31init_lookback_scan_state_kernelINS1_19lookback_scan_stateIN3c107complexIdEELb0ELb0EEEEEvT_jjPNS8_10value_typeE: ; @_ZN7rocprim17ROCPRIM_304000_NS6detail31init_lookback_scan_state_kernelINS1_19lookback_scan_stateIN3c107complexIdEELb0ELb0EEEEEvT_jjPNS8_10value_typeE
; %bb.0:
	s_load_dword s3, s[0:1], 0x34
	s_load_dwordx2 s[8:9], s[0:1], 0x20
	s_load_dwordx4 s[4:7], s[0:1], 0x10
	s_waitcnt lgkmcnt(0)
	s_and_b32 s3, s3, 0xffff
	s_mul_i32 s2, s2, s3
	s_cmp_eq_u64 s[8:9], 0
	v_add_u32_e32 v0, s2, v0
	s_cbranch_scc1 .LBB80_7
; %bb.1:
	s_cmp_lt_u32 s7, s6
	s_cselect_b32 s2, s7, 0
	s_mov_b32 s13, 0
	v_cmp_eq_u32_e32 vcc, s2, v0
	s_and_saveexec_b64 s[10:11], vcc
	s_cbranch_execz .LBB80_6
; %bb.2:
	s_add_i32 s12, s7, 64
	v_mov_b32_e32 v1, s12
	global_load_ubyte v1, v1, s[4:5] sc1
	s_load_dwordx4 s[0:3], s[0:1], 0x0
	s_add_u32 s14, s4, s12
	s_addc_u32 s15, s5, 0
	s_waitcnt vmcnt(0)
	v_cmp_ne_u16_e32 vcc, 0, v1
	v_readfirstlane_b32 s7, v1
	s_cbranch_vccnz .LBB80_5
; %bb.3:
	v_mov_b32_e32 v1, 0
.LBB80_4:                               ; =>This Inner Loop Header: Depth=1
	global_load_ubyte v2, v1, s[14:15] sc1
	s_waitcnt vmcnt(0)
	v_cmp_eq_u16_e32 vcc, 0, v2
	v_readfirstlane_b32 s7, v2
	s_cbranch_vccnz .LBB80_4
.LBB80_5:
	s_and_b32 s7, 0xffff, s7
	s_cmp_eq_u32 s7, 1
	s_waitcnt lgkmcnt(0)
	s_cselect_b32 s3, s1, s3
	s_cselect_b32 s2, s0, s2
	s_lshl_b64 s[0:1], s[12:13], 4
	s_add_u32 s0, s2, s0
	s_addc_u32 s1, s3, s1
	v_mov_b32_e32 v1, 0
	s_waitcnt vmcnt(0)
	global_load_dword v2, v1, s[0:1] sc1
	global_load_dword v3, v1, s[0:1] offset:4 sc1
	global_load_dword v4, v1, s[0:1] offset:8 sc1
	;; [unrolled: 1-line block ×3, first 2 shown]
	s_waitcnt vmcnt(0)
	global_store_dwordx4 v1, v[2:5], s[8:9]
.LBB80_6:
	s_or_b64 exec, exec, s[10:11]
.LBB80_7:
	v_cmp_gt_u32_e32 vcc, s6, v0
	s_and_saveexec_b64 s[0:1], vcc
	s_cbranch_execnz .LBB80_10
; %bb.8:
	s_or_b64 exec, exec, s[0:1]
	v_cmp_gt_u32_e32 vcc, 64, v0
	s_and_saveexec_b64 s[0:1], vcc
	s_cbranch_execnz .LBB80_11
.LBB80_9:
	s_endpgm
.LBB80_10:
	v_add_u32_e32 v1, 64, v0
	v_mov_b32_e32 v2, 0
	global_store_byte v1, v2, s[4:5]
	s_or_b64 exec, exec, s[0:1]
	v_cmp_gt_u32_e32 vcc, 64, v0
	s_and_saveexec_b64 s[0:1], vcc
	s_cbranch_execz .LBB80_9
.LBB80_11:
	v_mov_b32_e32 v1, 0xff
	global_store_byte v0, v1, s[4:5]
	s_endpgm
	.section	.rodata,"a",@progbits
	.p2align	6, 0x0
	.amdhsa_kernel _ZN7rocprim17ROCPRIM_304000_NS6detail31init_lookback_scan_state_kernelINS1_19lookback_scan_stateIN3c107complexIdEELb0ELb0EEEEEvT_jjPNS8_10value_typeE
		.amdhsa_group_segment_fixed_size 0
		.amdhsa_private_segment_fixed_size 0
		.amdhsa_kernarg_size 296
		.amdhsa_user_sgpr_count 2
		.amdhsa_user_sgpr_dispatch_ptr 0
		.amdhsa_user_sgpr_queue_ptr 0
		.amdhsa_user_sgpr_kernarg_segment_ptr 1
		.amdhsa_user_sgpr_dispatch_id 0
		.amdhsa_user_sgpr_kernarg_preload_length 0
		.amdhsa_user_sgpr_kernarg_preload_offset 0
		.amdhsa_user_sgpr_private_segment_size 0
		.amdhsa_uses_dynamic_stack 0
		.amdhsa_enable_private_segment 0
		.amdhsa_system_sgpr_workgroup_id_x 1
		.amdhsa_system_sgpr_workgroup_id_y 0
		.amdhsa_system_sgpr_workgroup_id_z 0
		.amdhsa_system_sgpr_workgroup_info 0
		.amdhsa_system_vgpr_workitem_id 0
		.amdhsa_next_free_vgpr 6
		.amdhsa_next_free_sgpr 16
		.amdhsa_accum_offset 8
		.amdhsa_reserve_vcc 1
		.amdhsa_float_round_mode_32 0
		.amdhsa_float_round_mode_16_64 0
		.amdhsa_float_denorm_mode_32 3
		.amdhsa_float_denorm_mode_16_64 3
		.amdhsa_dx10_clamp 1
		.amdhsa_ieee_mode 1
		.amdhsa_fp16_overflow 0
		.amdhsa_tg_split 0
		.amdhsa_exception_fp_ieee_invalid_op 0
		.amdhsa_exception_fp_denorm_src 0
		.amdhsa_exception_fp_ieee_div_zero 0
		.amdhsa_exception_fp_ieee_overflow 0
		.amdhsa_exception_fp_ieee_underflow 0
		.amdhsa_exception_fp_ieee_inexact 0
		.amdhsa_exception_int_div_zero 0
	.end_amdhsa_kernel
	.section	.text._ZN7rocprim17ROCPRIM_304000_NS6detail31init_lookback_scan_state_kernelINS1_19lookback_scan_stateIN3c107complexIdEELb0ELb0EEEEEvT_jjPNS8_10value_typeE,"axG",@progbits,_ZN7rocprim17ROCPRIM_304000_NS6detail31init_lookback_scan_state_kernelINS1_19lookback_scan_stateIN3c107complexIdEELb0ELb0EEEEEvT_jjPNS8_10value_typeE,comdat
.Lfunc_end80:
	.size	_ZN7rocprim17ROCPRIM_304000_NS6detail31init_lookback_scan_state_kernelINS1_19lookback_scan_stateIN3c107complexIdEELb0ELb0EEEEEvT_jjPNS8_10value_typeE, .Lfunc_end80-_ZN7rocprim17ROCPRIM_304000_NS6detail31init_lookback_scan_state_kernelINS1_19lookback_scan_stateIN3c107complexIdEELb0ELb0EEEEEvT_jjPNS8_10value_typeE
                                        ; -- End function
	.section	.AMDGPU.csdata,"",@progbits
; Kernel info:
; codeLenInByte = 328
; NumSgprs: 22
; NumVgprs: 6
; NumAgprs: 0
; TotalNumVgprs: 6
; ScratchSize: 0
; MemoryBound: 0
; FloatMode: 240
; IeeeMode: 1
; LDSByteSize: 0 bytes/workgroup (compile time only)
; SGPRBlocks: 2
; VGPRBlocks: 0
; NumSGPRsForWavesPerEU: 22
; NumVGPRsForWavesPerEU: 6
; AccumOffset: 8
; Occupancy: 8
; WaveLimiterHint : 0
; COMPUTE_PGM_RSRC2:SCRATCH_EN: 0
; COMPUTE_PGM_RSRC2:USER_SGPR: 2
; COMPUTE_PGM_RSRC2:TRAP_HANDLER: 0
; COMPUTE_PGM_RSRC2:TGID_X_EN: 1
; COMPUTE_PGM_RSRC2:TGID_Y_EN: 0
; COMPUTE_PGM_RSRC2:TGID_Z_EN: 0
; COMPUTE_PGM_RSRC2:TIDIG_COMP_CNT: 0
; COMPUTE_PGM_RSRC3_GFX90A:ACCUM_OFFSET: 1
; COMPUTE_PGM_RSRC3_GFX90A:TG_SPLIT: 0
	.section	.text._ZN7rocprim17ROCPRIM_304000_NS6detail20lookback_scan_kernelILNS1_25lookback_scan_determinismE0ELb0ENS1_19wrapped_scan_configINS0_14default_configEN3c107complexIdEEEEPKS8_PS8_St4plusIS8_ES8_S8_NS1_19lookback_scan_stateIS8_Lb1ELb0EEEEEvT2_T3_mT5_T4_T7_jPT6_SN_bb,"axG",@progbits,_ZN7rocprim17ROCPRIM_304000_NS6detail20lookback_scan_kernelILNS1_25lookback_scan_determinismE0ELb0ENS1_19wrapped_scan_configINS0_14default_configEN3c107complexIdEEEEPKS8_PS8_St4plusIS8_ES8_S8_NS1_19lookback_scan_stateIS8_Lb1ELb0EEEEEvT2_T3_mT5_T4_T7_jPT6_SN_bb,comdat
	.protected	_ZN7rocprim17ROCPRIM_304000_NS6detail20lookback_scan_kernelILNS1_25lookback_scan_determinismE0ELb0ENS1_19wrapped_scan_configINS0_14default_configEN3c107complexIdEEEEPKS8_PS8_St4plusIS8_ES8_S8_NS1_19lookback_scan_stateIS8_Lb1ELb0EEEEEvT2_T3_mT5_T4_T7_jPT6_SN_bb ; -- Begin function _ZN7rocprim17ROCPRIM_304000_NS6detail20lookback_scan_kernelILNS1_25lookback_scan_determinismE0ELb0ENS1_19wrapped_scan_configINS0_14default_configEN3c107complexIdEEEEPKS8_PS8_St4plusIS8_ES8_S8_NS1_19lookback_scan_stateIS8_Lb1ELb0EEEEEvT2_T3_mT5_T4_T7_jPT6_SN_bb
	.globl	_ZN7rocprim17ROCPRIM_304000_NS6detail20lookback_scan_kernelILNS1_25lookback_scan_determinismE0ELb0ENS1_19wrapped_scan_configINS0_14default_configEN3c107complexIdEEEEPKS8_PS8_St4plusIS8_ES8_S8_NS1_19lookback_scan_stateIS8_Lb1ELb0EEEEEvT2_T3_mT5_T4_T7_jPT6_SN_bb
	.p2align	8
	.type	_ZN7rocprim17ROCPRIM_304000_NS6detail20lookback_scan_kernelILNS1_25lookback_scan_determinismE0ELb0ENS1_19wrapped_scan_configINS0_14default_configEN3c107complexIdEEEEPKS8_PS8_St4plusIS8_ES8_S8_NS1_19lookback_scan_stateIS8_Lb1ELb0EEEEEvT2_T3_mT5_T4_T7_jPT6_SN_bb,@function
_ZN7rocprim17ROCPRIM_304000_NS6detail20lookback_scan_kernelILNS1_25lookback_scan_determinismE0ELb0ENS1_19wrapped_scan_configINS0_14default_configEN3c107complexIdEEEEPKS8_PS8_St4plusIS8_ES8_S8_NS1_19lookback_scan_stateIS8_Lb1ELb0EEEEEvT2_T3_mT5_T4_T7_jPT6_SN_bb: ; @_ZN7rocprim17ROCPRIM_304000_NS6detail20lookback_scan_kernelILNS1_25lookback_scan_determinismE0ELb0ENS1_19wrapped_scan_configINS0_14default_configEN3c107complexIdEEEEPKS8_PS8_St4plusIS8_ES8_S8_NS1_19lookback_scan_stateIS8_Lb1ELb0EEEEEvT2_T3_mT5_T4_T7_jPT6_SN_bb
; %bb.0:
	s_endpgm
	.section	.rodata,"a",@progbits
	.p2align	6, 0x0
	.amdhsa_kernel _ZN7rocprim17ROCPRIM_304000_NS6detail20lookback_scan_kernelILNS1_25lookback_scan_determinismE0ELb0ENS1_19wrapped_scan_configINS0_14default_configEN3c107complexIdEEEEPKS8_PS8_St4plusIS8_ES8_S8_NS1_19lookback_scan_stateIS8_Lb1ELb0EEEEEvT2_T3_mT5_T4_T7_jPT6_SN_bb
		.amdhsa_group_segment_fixed_size 0
		.amdhsa_private_segment_fixed_size 0
		.amdhsa_kernarg_size 108
		.amdhsa_user_sgpr_count 2
		.amdhsa_user_sgpr_dispatch_ptr 0
		.amdhsa_user_sgpr_queue_ptr 0
		.amdhsa_user_sgpr_kernarg_segment_ptr 1
		.amdhsa_user_sgpr_dispatch_id 0
		.amdhsa_user_sgpr_kernarg_preload_length 0
		.amdhsa_user_sgpr_kernarg_preload_offset 0
		.amdhsa_user_sgpr_private_segment_size 0
		.amdhsa_uses_dynamic_stack 0
		.amdhsa_enable_private_segment 0
		.amdhsa_system_sgpr_workgroup_id_x 1
		.amdhsa_system_sgpr_workgroup_id_y 0
		.amdhsa_system_sgpr_workgroup_id_z 0
		.amdhsa_system_sgpr_workgroup_info 0
		.amdhsa_system_vgpr_workitem_id 0
		.amdhsa_next_free_vgpr 1
		.amdhsa_next_free_sgpr 0
		.amdhsa_accum_offset 4
		.amdhsa_reserve_vcc 0
		.amdhsa_float_round_mode_32 0
		.amdhsa_float_round_mode_16_64 0
		.amdhsa_float_denorm_mode_32 3
		.amdhsa_float_denorm_mode_16_64 3
		.amdhsa_dx10_clamp 1
		.amdhsa_ieee_mode 1
		.amdhsa_fp16_overflow 0
		.amdhsa_tg_split 0
		.amdhsa_exception_fp_ieee_invalid_op 0
		.amdhsa_exception_fp_denorm_src 0
		.amdhsa_exception_fp_ieee_div_zero 0
		.amdhsa_exception_fp_ieee_overflow 0
		.amdhsa_exception_fp_ieee_underflow 0
		.amdhsa_exception_fp_ieee_inexact 0
		.amdhsa_exception_int_div_zero 0
	.end_amdhsa_kernel
	.section	.text._ZN7rocprim17ROCPRIM_304000_NS6detail20lookback_scan_kernelILNS1_25lookback_scan_determinismE0ELb0ENS1_19wrapped_scan_configINS0_14default_configEN3c107complexIdEEEEPKS8_PS8_St4plusIS8_ES8_S8_NS1_19lookback_scan_stateIS8_Lb1ELb0EEEEEvT2_T3_mT5_T4_T7_jPT6_SN_bb,"axG",@progbits,_ZN7rocprim17ROCPRIM_304000_NS6detail20lookback_scan_kernelILNS1_25lookback_scan_determinismE0ELb0ENS1_19wrapped_scan_configINS0_14default_configEN3c107complexIdEEEEPKS8_PS8_St4plusIS8_ES8_S8_NS1_19lookback_scan_stateIS8_Lb1ELb0EEEEEvT2_T3_mT5_T4_T7_jPT6_SN_bb,comdat
.Lfunc_end81:
	.size	_ZN7rocprim17ROCPRIM_304000_NS6detail20lookback_scan_kernelILNS1_25lookback_scan_determinismE0ELb0ENS1_19wrapped_scan_configINS0_14default_configEN3c107complexIdEEEEPKS8_PS8_St4plusIS8_ES8_S8_NS1_19lookback_scan_stateIS8_Lb1ELb0EEEEEvT2_T3_mT5_T4_T7_jPT6_SN_bb, .Lfunc_end81-_ZN7rocprim17ROCPRIM_304000_NS6detail20lookback_scan_kernelILNS1_25lookback_scan_determinismE0ELb0ENS1_19wrapped_scan_configINS0_14default_configEN3c107complexIdEEEEPKS8_PS8_St4plusIS8_ES8_S8_NS1_19lookback_scan_stateIS8_Lb1ELb0EEEEEvT2_T3_mT5_T4_T7_jPT6_SN_bb
                                        ; -- End function
	.section	.AMDGPU.csdata,"",@progbits
; Kernel info:
; codeLenInByte = 4
; NumSgprs: 6
; NumVgprs: 0
; NumAgprs: 0
; TotalNumVgprs: 0
; ScratchSize: 0
; MemoryBound: 0
; FloatMode: 240
; IeeeMode: 1
; LDSByteSize: 0 bytes/workgroup (compile time only)
; SGPRBlocks: 0
; VGPRBlocks: 0
; NumSGPRsForWavesPerEU: 6
; NumVGPRsForWavesPerEU: 1
; AccumOffset: 4
; Occupancy: 8
; WaveLimiterHint : 0
; COMPUTE_PGM_RSRC2:SCRATCH_EN: 0
; COMPUTE_PGM_RSRC2:USER_SGPR: 2
; COMPUTE_PGM_RSRC2:TRAP_HANDLER: 0
; COMPUTE_PGM_RSRC2:TGID_X_EN: 1
; COMPUTE_PGM_RSRC2:TGID_Y_EN: 0
; COMPUTE_PGM_RSRC2:TGID_Z_EN: 0
; COMPUTE_PGM_RSRC2:TIDIG_COMP_CNT: 0
; COMPUTE_PGM_RSRC3_GFX90A:ACCUM_OFFSET: 0
; COMPUTE_PGM_RSRC3_GFX90A:TG_SPLIT: 0
	.section	.text._ZN7rocprim17ROCPRIM_304000_NS6detail20lookback_scan_kernelILNS1_25lookback_scan_determinismE0ELb0ENS1_19wrapped_scan_configINS0_14default_configEN3c107complexIdEEEEPKS8_PS8_St4plusIS8_ES8_S8_NS1_19lookback_scan_stateIS8_Lb0ELb0EEEEEvT2_T3_mT5_T4_T7_jPT6_SN_bb,"axG",@progbits,_ZN7rocprim17ROCPRIM_304000_NS6detail20lookback_scan_kernelILNS1_25lookback_scan_determinismE0ELb0ENS1_19wrapped_scan_configINS0_14default_configEN3c107complexIdEEEEPKS8_PS8_St4plusIS8_ES8_S8_NS1_19lookback_scan_stateIS8_Lb0ELb0EEEEEvT2_T3_mT5_T4_T7_jPT6_SN_bb,comdat
	.protected	_ZN7rocprim17ROCPRIM_304000_NS6detail20lookback_scan_kernelILNS1_25lookback_scan_determinismE0ELb0ENS1_19wrapped_scan_configINS0_14default_configEN3c107complexIdEEEEPKS8_PS8_St4plusIS8_ES8_S8_NS1_19lookback_scan_stateIS8_Lb0ELb0EEEEEvT2_T3_mT5_T4_T7_jPT6_SN_bb ; -- Begin function _ZN7rocprim17ROCPRIM_304000_NS6detail20lookback_scan_kernelILNS1_25lookback_scan_determinismE0ELb0ENS1_19wrapped_scan_configINS0_14default_configEN3c107complexIdEEEEPKS8_PS8_St4plusIS8_ES8_S8_NS1_19lookback_scan_stateIS8_Lb0ELb0EEEEEvT2_T3_mT5_T4_T7_jPT6_SN_bb
	.globl	_ZN7rocprim17ROCPRIM_304000_NS6detail20lookback_scan_kernelILNS1_25lookback_scan_determinismE0ELb0ENS1_19wrapped_scan_configINS0_14default_configEN3c107complexIdEEEEPKS8_PS8_St4plusIS8_ES8_S8_NS1_19lookback_scan_stateIS8_Lb0ELb0EEEEEvT2_T3_mT5_T4_T7_jPT6_SN_bb
	.p2align	8
	.type	_ZN7rocprim17ROCPRIM_304000_NS6detail20lookback_scan_kernelILNS1_25lookback_scan_determinismE0ELb0ENS1_19wrapped_scan_configINS0_14default_configEN3c107complexIdEEEEPKS8_PS8_St4plusIS8_ES8_S8_NS1_19lookback_scan_stateIS8_Lb0ELb0EEEEEvT2_T3_mT5_T4_T7_jPT6_SN_bb,@function
_ZN7rocprim17ROCPRIM_304000_NS6detail20lookback_scan_kernelILNS1_25lookback_scan_determinismE0ELb0ENS1_19wrapped_scan_configINS0_14default_configEN3c107complexIdEEEEPKS8_PS8_St4plusIS8_ES8_S8_NS1_19lookback_scan_stateIS8_Lb0ELb0EEEEEvT2_T3_mT5_T4_T7_jPT6_SN_bb: ; @_ZN7rocprim17ROCPRIM_304000_NS6detail20lookback_scan_kernelILNS1_25lookback_scan_determinismE0ELb0ENS1_19wrapped_scan_configINS0_14default_configEN3c107complexIdEEEEPKS8_PS8_St4plusIS8_ES8_S8_NS1_19lookback_scan_stateIS8_Lb0ELb0EEEEEvT2_T3_mT5_T4_T7_jPT6_SN_bb
; %bb.0:
	s_load_dword s3, s[0:1], 0x50
	s_load_dwordx4 s[4:7], s[0:1], 0x0
	s_load_dwordx2 s[12:13], s[0:1], 0x10
	s_load_dwordx4 s[8:11], s[0:1], 0x38
	s_load_dwordx2 s[20:21], s[0:1], 0x48
	s_waitcnt lgkmcnt(0)
	s_add_i32 s3, s3, -1
	s_mul_i32 s16, s3, 0xe00
	s_sub_u32 s24, s12, s16
	s_subb_u32 s25, s13, 0
	s_mov_b32 s15, 0
	s_mul_i32 s14, s2, 0xe00
	s_cmp_lg_u32 s2, s3
	s_cselect_b64 s[16:17], -1, 0
	s_lshl_b64 s[18:19], s[14:15], 4
	s_add_u32 s22, s4, s18
	s_addc_u32 s23, s5, s19
	s_mov_b64 s[4:5], -1
	s_and_b64 vcc, exec, s[16:17]
	v_lshlrev_b32_e32 v118, 4, v0
	s_cbranch_vccz .LBB82_2
; %bb.1:
	v_mov_b32_e32 v119, 0
	v_lshl_add_u64 v[54:55], s[22:23], 0, v[118:119]
	v_add_co_u32_e32 v14, vcc, 0x1000, v54
	global_load_dwordx4 v[2:5], v118, s[22:23]
	s_nop 0
	v_addc_co_u32_e32 v15, vcc, 0, v55, vcc
	v_add_co_u32_e32 v16, vcc, 0x2000, v54
	s_mov_b64 s[4:5], 0
	s_nop 0
	v_addc_co_u32_e32 v17, vcc, 0, v55, vcc
	v_add_co_u32_e32 v22, vcc, 0x3000, v54
	global_load_dwordx4 v[6:9], v[14:15], off
	global_load_dwordx4 v[10:13], v[16:17], off
	v_addc_co_u32_e32 v23, vcc, 0, v55, vcc
	v_add_co_u32_e32 v24, vcc, 0x4000, v54
	s_nop 1
	v_addc_co_u32_e32 v25, vcc, 0, v55, vcc
	v_add_co_u32_e32 v30, vcc, 0x5000, v54
	global_load_dwordx4 v[14:17], v[22:23], off
	global_load_dwordx4 v[18:21], v[24:25], off
	v_addc_co_u32_e32 v31, vcc, 0, v55, vcc
	v_add_co_u32_e32 v32, vcc, 0x6000, v54
	;; [unrolled: 7-line block ×5, first 2 shown]
	s_nop 1
	v_addc_co_u32_e32 v59, vcc, 0, v55, vcc
	global_load_dwordx4 v[46:49], v[56:57], off
	global_load_dwordx4 v[50:53], v[58:59], off
	v_add_co_u32_e32 v54, vcc, 0xd000, v54
	s_nop 1
	v_addc_co_u32_e32 v55, vcc, 0, v55, vcc
	global_load_dwordx4 v[54:57], v[54:55], off
	s_waitcnt vmcnt(13)
	ds_write_b128 v118, v[2:5]
	s_waitcnt vmcnt(12)
	ds_write_b128 v118, v[6:9] offset:4096
	s_waitcnt vmcnt(11)
	ds_write_b128 v118, v[10:13] offset:8192
	;; [unrolled: 2-line block ×13, first 2 shown]
	s_waitcnt lgkmcnt(0)
	s_barrier
.LBB82_2:
	s_andn2_b64 vcc, exec, s[4:5]
	v_cmp_gt_u32_e64 s[4:5], s24, v0
	s_cbranch_vccnz .LBB82_32
; %bb.3:
	s_load_dwordx4 s[12:15], s[22:23], 0x0
	v_mov_b32_e32 v119, 0
	v_lshl_add_u64 v[58:59], s[22:23], 0, v[118:119]
	s_waitcnt lgkmcnt(0)
	v_mov_b64_e32 v[4:5], s[14:15]
	v_mov_b64_e32 v[2:3], s[12:13]
	s_and_saveexec_b64 s[22:23], s[4:5]
	s_cbranch_execz .LBB82_5
; %bb.4:
	global_load_dwordx4 v[2:5], v[58:59], off
.LBB82_5:
	s_or_b64 exec, exec, s[22:23]
	v_or_b32_e32 v1, 0x100, v0
	v_cmp_gt_u32_e32 vcc, s24, v1
	v_mov_b64_e32 v[8:9], s[14:15]
	v_mov_b64_e32 v[6:7], s[12:13]
	s_and_saveexec_b64 s[4:5], vcc
	s_cbranch_execz .LBB82_7
; %bb.6:
	v_add_co_u32_e32 v6, vcc, 0x1000, v58
	s_nop 1
	v_addc_co_u32_e32 v7, vcc, 0, v59, vcc
	global_load_dwordx4 v[6:9], v[6:7], off
.LBB82_7:
	s_or_b64 exec, exec, s[4:5]
	v_or_b32_e32 v1, 0x200, v0
	v_cmp_gt_u32_e32 vcc, s24, v1
	v_mov_b64_e32 v[12:13], s[14:15]
	v_mov_b64_e32 v[10:11], s[12:13]
	s_and_saveexec_b64 s[4:5], vcc
	s_cbranch_execz .LBB82_9
; %bb.8:
	v_add_co_u32_e32 v10, vcc, 0x2000, v58
	s_nop 1
	v_addc_co_u32_e32 v11, vcc, 0, v59, vcc
	global_load_dwordx4 v[10:13], v[10:11], off
.LBB82_9:
	s_or_b64 exec, exec, s[4:5]
	v_or_b32_e32 v1, 0x300, v0
	v_cmp_gt_u32_e32 vcc, s24, v1
	v_mov_b64_e32 v[16:17], s[14:15]
	v_mov_b64_e32 v[14:15], s[12:13]
	s_and_saveexec_b64 s[4:5], vcc
	s_cbranch_execz .LBB82_11
; %bb.10:
	v_add_co_u32_e32 v14, vcc, 0x3000, v58
	s_nop 1
	v_addc_co_u32_e32 v15, vcc, 0, v59, vcc
	global_load_dwordx4 v[14:17], v[14:15], off
.LBB82_11:
	s_or_b64 exec, exec, s[4:5]
	v_or_b32_e32 v1, 0x400, v0
	v_cmp_gt_u32_e32 vcc, s24, v1
	v_mov_b64_e32 v[20:21], s[14:15]
	v_mov_b64_e32 v[18:19], s[12:13]
	s_and_saveexec_b64 s[4:5], vcc
	s_cbranch_execz .LBB82_13
; %bb.12:
	v_add_co_u32_e32 v18, vcc, 0x4000, v58
	s_nop 1
	v_addc_co_u32_e32 v19, vcc, 0, v59, vcc
	global_load_dwordx4 v[18:21], v[18:19], off
.LBB82_13:
	s_or_b64 exec, exec, s[4:5]
	v_or_b32_e32 v1, 0x500, v0
	v_cmp_gt_u32_e32 vcc, s24, v1
	v_mov_b64_e32 v[24:25], s[14:15]
	v_mov_b64_e32 v[22:23], s[12:13]
	s_and_saveexec_b64 s[4:5], vcc
	s_cbranch_execz .LBB82_15
; %bb.14:
	v_add_co_u32_e32 v22, vcc, 0x5000, v58
	s_nop 1
	v_addc_co_u32_e32 v23, vcc, 0, v59, vcc
	global_load_dwordx4 v[22:25], v[22:23], off
.LBB82_15:
	s_or_b64 exec, exec, s[4:5]
	v_or_b32_e32 v1, 0x600, v0
	v_cmp_gt_u32_e32 vcc, s24, v1
	v_mov_b64_e32 v[28:29], s[14:15]
	v_mov_b64_e32 v[26:27], s[12:13]
	s_and_saveexec_b64 s[4:5], vcc
	s_cbranch_execz .LBB82_17
; %bb.16:
	v_add_co_u32_e32 v26, vcc, 0x6000, v58
	s_nop 1
	v_addc_co_u32_e32 v27, vcc, 0, v59, vcc
	global_load_dwordx4 v[26:29], v[26:27], off
.LBB82_17:
	s_or_b64 exec, exec, s[4:5]
	v_or_b32_e32 v1, 0x700, v0
	v_cmp_gt_u32_e32 vcc, s24, v1
	v_mov_b64_e32 v[32:33], s[14:15]
	v_mov_b64_e32 v[30:31], s[12:13]
	s_and_saveexec_b64 s[4:5], vcc
	s_cbranch_execz .LBB82_19
; %bb.18:
	v_add_co_u32_e32 v30, vcc, 0x7000, v58
	s_nop 1
	v_addc_co_u32_e32 v31, vcc, 0, v59, vcc
	global_load_dwordx4 v[30:33], v[30:31], off
.LBB82_19:
	s_or_b64 exec, exec, s[4:5]
	v_or_b32_e32 v1, 0x800, v0
	v_cmp_gt_u32_e32 vcc, s24, v1
	v_mov_b64_e32 v[36:37], s[14:15]
	v_mov_b64_e32 v[34:35], s[12:13]
	s_and_saveexec_b64 s[4:5], vcc
	s_cbranch_execz .LBB82_21
; %bb.20:
	v_add_co_u32_e32 v34, vcc, 0x8000, v58
	s_nop 1
	v_addc_co_u32_e32 v35, vcc, 0, v59, vcc
	global_load_dwordx4 v[34:37], v[34:35], off
.LBB82_21:
	s_or_b64 exec, exec, s[4:5]
	v_or_b32_e32 v1, 0x900, v0
	v_cmp_gt_u32_e32 vcc, s24, v1
	v_mov_b64_e32 v[40:41], s[14:15]
	v_mov_b64_e32 v[38:39], s[12:13]
	s_and_saveexec_b64 s[4:5], vcc
	s_cbranch_execz .LBB82_23
; %bb.22:
	v_add_co_u32_e32 v38, vcc, 0x9000, v58
	s_nop 1
	v_addc_co_u32_e32 v39, vcc, 0, v59, vcc
	global_load_dwordx4 v[38:41], v[38:39], off
.LBB82_23:
	s_or_b64 exec, exec, s[4:5]
	v_or_b32_e32 v1, 0xa00, v0
	v_cmp_gt_u32_e32 vcc, s24, v1
	v_mov_b64_e32 v[44:45], s[14:15]
	v_mov_b64_e32 v[42:43], s[12:13]
	s_and_saveexec_b64 s[4:5], vcc
	s_cbranch_execz .LBB82_25
; %bb.24:
	v_add_co_u32_e32 v42, vcc, 0xa000, v58
	s_nop 1
	v_addc_co_u32_e32 v43, vcc, 0, v59, vcc
	global_load_dwordx4 v[42:45], v[42:43], off
.LBB82_25:
	s_or_b64 exec, exec, s[4:5]
	v_or_b32_e32 v1, 0xb00, v0
	v_cmp_gt_u32_e32 vcc, s24, v1
	v_mov_b64_e32 v[48:49], s[14:15]
	v_mov_b64_e32 v[46:47], s[12:13]
	s_and_saveexec_b64 s[4:5], vcc
	s_cbranch_execz .LBB82_27
; %bb.26:
	v_add_co_u32_e32 v46, vcc, 0xb000, v58
	s_nop 1
	v_addc_co_u32_e32 v47, vcc, 0, v59, vcc
	global_load_dwordx4 v[46:49], v[46:47], off
.LBB82_27:
	s_or_b64 exec, exec, s[4:5]
	v_or_b32_e32 v1, 0xc00, v0
	v_cmp_gt_u32_e32 vcc, s24, v1
	v_mov_b64_e32 v[52:53], s[14:15]
	v_mov_b64_e32 v[50:51], s[12:13]
	s_and_saveexec_b64 s[4:5], vcc
	s_cbranch_execz .LBB82_29
; %bb.28:
	v_add_co_u32_e32 v50, vcc, 0xc000, v58
	s_nop 1
	v_addc_co_u32_e32 v51, vcc, 0, v59, vcc
	global_load_dwordx4 v[50:53], v[50:51], off
.LBB82_29:
	s_or_b64 exec, exec, s[4:5]
	v_or_b32_e32 v1, 0xd00, v0
	v_cmp_gt_u32_e32 vcc, s24, v1
	v_mov_b64_e32 v[56:57], s[14:15]
	v_mov_b64_e32 v[54:55], s[12:13]
	s_and_saveexec_b64 s[4:5], vcc
	s_cbranch_execz .LBB82_31
; %bb.30:
	v_add_co_u32_e32 v54, vcc, 0xd000, v58
	s_nop 1
	v_addc_co_u32_e32 v55, vcc, 0, v59, vcc
	global_load_dwordx4 v[54:57], v[54:55], off
.LBB82_31:
	s_or_b64 exec, exec, s[4:5]
	s_waitcnt vmcnt(0)
	ds_write_b128 v118, v[2:5]
	ds_write_b128 v118, v[6:9] offset:4096
	ds_write_b128 v118, v[10:13] offset:8192
	;; [unrolled: 1-line block ×13, first 2 shown]
	s_waitcnt lgkmcnt(0)
	s_barrier
.LBB82_32:
	v_mul_u32_u24_e32 v124, 14, v0
	v_lshlrev_b32_e32 v1, 4, v124
	ds_read_b128 v[2:5], v1
	ds_read_b128 v[14:17], v1 offset:16
	ds_read_b128 v[10:13], v1 offset:32
	;; [unrolled: 1-line block ×13, first 2 shown]
	s_cmp_lg_u32 s2, 0
	v_mbcnt_lo_u32_b32 v114, -1, 0
	s_waitcnt lgkmcnt(0)
	s_barrier
	s_cbranch_scc0 .LBB82_99
; %bb.33:
	v_add_f64 v[58:59], v[2:3], v[14:15]
	v_add_f64 v[60:61], v[4:5], v[16:17]
	;; [unrolled: 1-line block ×24, first 2 shown]
	v_mbcnt_hi_u32_b32 v72, -1, v114
	v_add_f64 v[64:65], v[60:61], v[20:21]
	v_add_f64 v[62:63], v[58:59], v[18:19]
	v_and_b32_e32 v66, 15, v72
	v_mov_b32_dpp v60, v64 row_shr:1 row_mask:0xf bank_mask:0xf
	v_mov_b32_dpp v58, v62 row_shr:1 row_mask:0xf bank_mask:0xf
	;; [unrolled: 1-line block ×4, first 2 shown]
	v_cmp_ne_u32_e32 vcc, 0, v66
	s_and_saveexec_b64 s[4:5], vcc
; %bb.34:
	v_add_f64 v[64:65], v[64:65], v[60:61]
	v_add_f64 v[62:63], v[62:63], v[58:59]
; %bb.35:
	s_or_b64 exec, exec, s[4:5]
	s_nop 0
	v_mov_b32_dpp v58, v62 row_shr:2 row_mask:0xf bank_mask:0xf
	v_mov_b32_dpp v59, v63 row_shr:2 row_mask:0xf bank_mask:0xf
	v_mov_b32_dpp v60, v64 row_shr:2 row_mask:0xf bank_mask:0xf
	v_mov_b32_dpp v61, v65 row_shr:2 row_mask:0xf bank_mask:0xf
	v_cmp_lt_u32_e32 vcc, 1, v66
	s_and_saveexec_b64 s[4:5], vcc
; %bb.36:
	v_add_f64 v[64:65], v[64:65], v[60:61]
	v_add_f64 v[62:63], v[62:63], v[58:59]
; %bb.37:
	s_or_b64 exec, exec, s[4:5]
	s_nop 0
	v_mov_b32_dpp v58, v62 row_shr:4 row_mask:0xf bank_mask:0xf
	v_mov_b32_dpp v59, v63 row_shr:4 row_mask:0xf bank_mask:0xf
	v_mov_b32_dpp v60, v64 row_shr:4 row_mask:0xf bank_mask:0xf
	v_mov_b32_dpp v61, v65 row_shr:4 row_mask:0xf bank_mask:0xf
	v_cmp_lt_u32_e32 vcc, 3, v66
	s_and_saveexec_b64 s[4:5], vcc
; %bb.38:
	v_add_f64 v[64:65], v[64:65], v[60:61]
	v_add_f64 v[62:63], v[62:63], v[58:59]
; %bb.39:
	s_or_b64 exec, exec, s[4:5]
	s_nop 0
	v_mov_b32_dpp v58, v62 row_shr:8 row_mask:0xf bank_mask:0xf
	v_mov_b32_dpp v59, v63 row_shr:8 row_mask:0xf bank_mask:0xf
	v_mov_b32_dpp v60, v64 row_shr:8 row_mask:0xf bank_mask:0xf
	v_mov_b32_dpp v61, v65 row_shr:8 row_mask:0xf bank_mask:0xf
	v_cmp_lt_u32_e32 vcc, 7, v66
	s_and_saveexec_b64 s[4:5], vcc
; %bb.40:
	v_add_f64 v[64:65], v[64:65], v[60:61]
	v_add_f64 v[62:63], v[62:63], v[58:59]
; %bb.41:
	s_or_b64 exec, exec, s[4:5]
	v_and_b32_e32 v66, 16, v72
	v_mov_b32_dpp v58, v62 row_bcast:15 row_mask:0xf bank_mask:0xf
	v_mov_b32_dpp v59, v63 row_bcast:15 row_mask:0xf bank_mask:0xf
	;; [unrolled: 1-line block ×4, first 2 shown]
	v_cmp_ne_u32_e32 vcc, 0, v66
	s_and_saveexec_b64 s[4:5], vcc
; %bb.42:
	v_add_f64 v[64:65], v[64:65], v[60:61]
	v_add_f64 v[62:63], v[62:63], v[58:59]
; %bb.43:
	s_or_b64 exec, exec, s[4:5]
	s_nop 0
	v_mov_b32_dpp v58, v62 row_bcast:31 row_mask:0xf bank_mask:0xf
	v_mov_b32_dpp v59, v63 row_bcast:31 row_mask:0xf bank_mask:0xf
	;; [unrolled: 1-line block ×4, first 2 shown]
	v_cmp_lt_u32_e32 vcc, 31, v72
	s_and_saveexec_b64 s[4:5], vcc
; %bb.44:
	v_add_f64 v[64:65], v[64:65], v[60:61]
	v_add_f64 v[62:63], v[62:63], v[58:59]
; %bb.45:
	s_or_b64 exec, exec, s[4:5]
	v_or_b32_e32 v58, 63, v0
	v_lshrrev_b32_e32 v70, 6, v0
	v_cmp_eq_u32_e32 vcc, v58, v0
	s_and_saveexec_b64 s[4:5], vcc
	s_cbranch_execz .LBB82_47
; %bb.46:
	v_lshlrev_b32_e32 v58, 4, v70
	ds_write_b128 v58, v[62:65]
.LBB82_47:
	s_or_b64 exec, exec, s[4:5]
	v_cmp_gt_u32_e32 vcc, 4, v0
	s_waitcnt lgkmcnt(0)
	s_barrier
	s_and_saveexec_b64 s[4:5], vcc
	s_cbranch_execz .LBB82_53
; %bb.48:
	ds_read_b128 v[58:61], v118
	v_and_b32_e32 v71, 3, v72
	v_cmp_ne_u32_e32 vcc, 0, v71
	s_waitcnt lgkmcnt(0)
	v_mov_b32_dpp v66, v58 row_shr:1 row_mask:0xf bank_mask:0xf
	v_mov_b32_dpp v67, v59 row_shr:1 row_mask:0xf bank_mask:0xf
	v_mov_b32_dpp v68, v60 row_shr:1 row_mask:0xf bank_mask:0xf
	v_mov_b32_dpp v69, v61 row_shr:1 row_mask:0xf bank_mask:0xf
	s_and_saveexec_b64 s[12:13], vcc
; %bb.49:
	v_add_f64 v[60:61], v[60:61], v[68:69]
	v_add_f64 v[58:59], v[58:59], v[66:67]
; %bb.50:
	s_or_b64 exec, exec, s[12:13]
	s_nop 0
	v_mov_b32_dpp v66, v58 row_shr:2 row_mask:0xf bank_mask:0xf
	v_mov_b32_dpp v67, v59 row_shr:2 row_mask:0xf bank_mask:0xf
	;; [unrolled: 1-line block ×4, first 2 shown]
	v_cmp_lt_u32_e32 vcc, 1, v71
	s_and_saveexec_b64 s[12:13], vcc
; %bb.51:
	v_add_f64 v[60:61], v[60:61], v[68:69]
	v_add_f64 v[58:59], v[58:59], v[66:67]
; %bb.52:
	s_or_b64 exec, exec, s[12:13]
	ds_write_b128 v118, v[58:61]
.LBB82_53:
	s_or_b64 exec, exec, s[4:5]
	v_mov_b64_e32 v[60:61], 0
	v_cmp_gt_u32_e32 vcc, 64, v0
	v_cmp_lt_u32_e64 s[4:5], 63, v0
	v_mov_b64_e32 v[58:59], v[60:61]
	s_waitcnt lgkmcnt(0)
	s_barrier
	s_and_saveexec_b64 s[12:13], s[4:5]
	s_cbranch_execz .LBB82_55
; %bb.54:
	v_lshl_add_u32 v58, v70, 4, -16
	ds_read_b128 v[58:61], v58
	s_waitcnt lgkmcnt(0)
	v_add_f64 v[62:63], v[62:63], v[58:59]
	v_add_f64 v[64:65], v[64:65], v[60:61]
.LBB82_55:
	s_or_b64 exec, exec, s[12:13]
	v_add_u32_e32 v66, -1, v72
	v_and_b32_e32 v67, 64, v72
	v_cmp_lt_i32_e64 s[4:5], v66, v67
	s_nop 1
	v_cndmask_b32_e64 v66, v66, v72, s[4:5]
	v_lshlrev_b32_e32 v66, 2, v66
	ds_bpermute_b32 v83, v66, v62
	ds_bpermute_b32 v85, v66, v63
	;; [unrolled: 1-line block ×4, first 2 shown]
	v_cmp_eq_u32_e64 s[4:5], 0, v72
	s_and_saveexec_b64 s[12:13], vcc
	s_cbranch_execz .LBB82_98
; %bb.56:
	v_mov_b32_e32 v67, 0
	ds_read_b128 v[62:65], v67 offset:48
	s_and_saveexec_b64 s[14:15], s[4:5]
	s_cbranch_execz .LBB82_58
; %bb.57:
	s_add_i32 s22, s2, 64
	s_mov_b32 s23, 0
	s_lshl_b64 s[26:27], s[22:23], 4
	s_add_u32 s26, s8, s26
	s_addc_u32 s27, s9, s27
	v_mov_b32_e32 v66, s22
	v_mov_b32_e32 v68, 1
	s_waitcnt lgkmcnt(0)
	global_store_dword v67, v62, s[26:27] sc1
	global_store_dword v67, v63, s[26:27] offset:4 sc1
	global_store_dword v67, v64, s[26:27] offset:8 sc1
	;; [unrolled: 1-line block ×3, first 2 shown]
	s_waitcnt vmcnt(0)
	global_store_byte v66, v68, s[20:21] sc1
.LBB82_58:
	s_or_b64 exec, exec, s[14:15]
	v_xad_u32 v74, v72, -1, s2
	v_add_u32_e32 v66, 64, v74
	global_load_ubyte v86, v66, s[20:21] sc1
	s_waitcnt vmcnt(0)
	v_cmp_eq_u16_e32 vcc, 0, v86
	s_and_saveexec_b64 s[14:15], vcc
	s_cbranch_execz .LBB82_62
; %bb.59:
	v_lshl_add_u64 v[68:69], s[20:21], 0, v[66:67]
	s_mov_b64 s[22:23], 0
.LBB82_60:                              ; =>This Inner Loop Header: Depth=1
	global_load_ubyte v86, v[68:69], off sc1
	s_waitcnt vmcnt(0)
	v_cmp_ne_u16_e32 vcc, 0, v86
	s_or_b64 s[22:23], vcc, s[22:23]
	s_andn2_b64 exec, exec, s[22:23]
	s_cbranch_execnz .LBB82_60
; %bb.61:
	s_or_b64 exec, exec, s[22:23]
.LBB82_62:
	s_or_b64 exec, exec, s[14:15]
	v_mov_b32_e32 v68, s11
	v_mov_b32_e32 v69, s9
	v_cmp_eq_u16_e32 vcc, 1, v86
	v_mov_b32_e32 v70, s8
	s_waitcnt vmcnt(0)
	v_cndmask_b32_e32 v69, v68, v69, vcc
	v_mov_b32_e32 v68, s10
	v_cndmask_b32_e32 v68, v68, v70, vcc
	v_lshl_add_u64 v[66:67], v[66:67], 4, v[68:69]
	s_waitcnt lgkmcnt(0)
	global_load_dword v78, v[66:67], off sc1
	global_load_dword v79, v[66:67], off offset:4 sc1
	global_load_dword v70, v[66:67], off offset:8 sc1
	;; [unrolled: 1-line block ×3, first 2 shown]
	v_cmp_eq_u16_e32 vcc, 2, v86
	v_lshlrev_b64 v[76:77], v72, -1
	v_and_b32_e32 v73, 63, v72
	v_and_b32_e32 v66, vcc_hi, v77
	v_and_b32_e32 v75, vcc_lo, v76
	v_cmp_ne_u32_e32 vcc, 63, v73
	v_or_b32_e32 v66, 0x80000000, v66
	v_ffbl_b32_e32 v66, v66
	v_addc_co_u32_e32 v67, vcc, 0, v72, vcc
	v_lshlrev_b32_e32 v87, 2, v67
	v_add_u32_e32 v80, 32, v66
	v_ffbl_b32_e32 v75, v75
	v_min_u32_e32 v75, v75, v80
	v_add_u32_e32 v88, 1, v72
	v_cmp_le_u32_e32 vcc, v88, v75
	s_waitcnt vmcnt(3)
	ds_bpermute_b32 v68, v87, v78
	s_waitcnt vmcnt(2)
	ds_bpermute_b32 v69, v87, v79
	;; [unrolled: 2-line block ×4, first 2 shown]
	s_and_saveexec_b64 s[14:15], vcc
	s_cbranch_execz .LBB82_64
; %bb.63:
	s_waitcnt lgkmcnt(2)
	v_add_f64 v[78:79], v[78:79], v[68:69]
	s_waitcnt lgkmcnt(0)
	v_add_f64 v[70:71], v[70:71], v[66:67]
.LBB82_64:
	s_or_b64 exec, exec, s[14:15]
	v_cmp_gt_u32_e32 vcc, 62, v73
	v_add_u32_e32 v90, 2, v72
	s_waitcnt lgkmcnt(1)
	v_cndmask_b32_e64 v66, 0, 1, vcc
	v_lshlrev_b32_e32 v66, 1, v66
	v_add_lshl_u32 v89, v66, v72, 2
	ds_bpermute_b32 v68, v89, v78
	ds_bpermute_b32 v69, v89, v79
	ds_bpermute_b32 v66, v89, v70
	s_waitcnt lgkmcnt(3)
	ds_bpermute_b32 v67, v89, v71
	v_cmp_le_u32_e32 vcc, v90, v75
	s_and_saveexec_b64 s[14:15], vcc
	s_cbranch_execz .LBB82_66
; %bb.65:
	s_waitcnt lgkmcnt(2)
	v_add_f64 v[78:79], v[78:79], v[68:69]
	s_waitcnt lgkmcnt(0)
	v_add_f64 v[70:71], v[70:71], v[66:67]
.LBB82_66:
	s_or_b64 exec, exec, s[14:15]
	v_cmp_gt_u32_e32 vcc, 60, v73
	v_add_u32_e32 v92, 4, v72
	s_waitcnt lgkmcnt(1)
	v_cndmask_b32_e64 v66, 0, 1, vcc
	v_lshlrev_b32_e32 v66, 2, v66
	v_add_lshl_u32 v91, v66, v72, 2
	ds_bpermute_b32 v68, v91, v78
	ds_bpermute_b32 v69, v91, v79
	ds_bpermute_b32 v66, v91, v70
	s_waitcnt lgkmcnt(3)
	ds_bpermute_b32 v67, v91, v71
	v_cmp_le_u32_e32 vcc, v92, v75
	;; [unrolled: 21-line block ×3, first 2 shown]
	s_and_saveexec_b64 s[14:15], vcc
	s_cbranch_execz .LBB82_70
; %bb.69:
	s_waitcnt lgkmcnt(2)
	v_add_f64 v[78:79], v[78:79], v[68:69]
	s_waitcnt lgkmcnt(0)
	v_add_f64 v[70:71], v[70:71], v[66:67]
.LBB82_70:
	s_or_b64 exec, exec, s[14:15]
	v_cmp_gt_u32_e32 vcc, 48, v73
	v_add_u32_e32 v96, 16, v72
	s_waitcnt lgkmcnt(1)
	v_cndmask_b32_e64 v66, 0, 1, vcc
	v_lshlrev_b32_e32 v66, 4, v66
	v_add_lshl_u32 v95, v66, v72, 2
	ds_bpermute_b32 v66, v95, v78
	s_waitcnt lgkmcnt(1)
	ds_bpermute_b32 v67, v95, v79
	ds_bpermute_b32 v68, v95, v70
	;; [unrolled: 1-line block ×3, first 2 shown]
	v_cmp_le_u32_e32 vcc, v96, v75
	s_and_saveexec_b64 s[14:15], vcc
	s_cbranch_execz .LBB82_72
; %bb.71:
	s_waitcnt lgkmcnt(2)
	v_add_f64 v[78:79], v[78:79], v[66:67]
	s_waitcnt lgkmcnt(0)
	v_add_f64 v[70:71], v[70:71], v[68:69]
.LBB82_72:
	s_or_b64 exec, exec, s[14:15]
	v_cmp_gt_u32_e32 vcc, 32, v73
	v_add_u32_e32 v98, 32, v72
	s_waitcnt lgkmcnt(3)
	v_cndmask_b32_e64 v66, 0, 1, vcc
	v_lshlrev_b32_e32 v66, 5, v66
	v_add_lshl_u32 v97, v66, v72, 2
	ds_bpermute_b32 v66, v97, v78
	s_waitcnt lgkmcnt(3)
	ds_bpermute_b32 v67, v97, v79
	s_waitcnt lgkmcnt(3)
	;; [unrolled: 2-line block ×3, first 2 shown]
	ds_bpermute_b32 v69, v97, v71
	v_cmp_le_u32_e32 vcc, v98, v75
	s_and_saveexec_b64 s[14:15], vcc
	s_cbranch_execz .LBB82_74
; %bb.73:
	s_waitcnt lgkmcnt(2)
	v_add_f64 v[78:79], v[78:79], v[66:67]
	s_waitcnt lgkmcnt(0)
	v_add_f64 v[70:71], v[70:71], v[68:69]
.LBB82_74:
	s_or_b64 exec, exec, s[14:15]
	v_mov_b32_e32 v75, 0
	v_mov_b32_e32 v99, 2
	s_branch .LBB82_76
.LBB82_75:                              ;   in Loop: Header=BB82_76 Depth=1
	s_or_b64 exec, exec, s[14:15]
	v_subrev_u32_e32 v74, 64, v74
	s_waitcnt lgkmcnt(0)
	v_add_f64 v[78:79], v[66:67], v[72:73]
	v_add_f64 v[70:71], v[68:69], v[70:71]
.LBB82_76:                              ; =>This Loop Header: Depth=1
                                        ;     Child Loop BB82_79 Depth 2
	v_cmp_ne_u16_sdwa s[14:15], v86, v99 src0_sel:BYTE_0 src1_sel:DWORD
	s_waitcnt lgkmcnt(2)
	v_mov_b64_e32 v[66:67], v[78:79]
	s_waitcnt lgkmcnt(1)
	v_cndmask_b32_e64 v68, 0, 1, s[14:15]
	;;#ASMSTART
	;;#ASMEND
	s_nop 0
	v_cmp_ne_u32_e32 vcc, 0, v68
	s_cmp_lg_u64 vcc, exec
	s_waitcnt lgkmcnt(0)
	v_mov_b64_e32 v[68:69], v[70:71]
	s_cbranch_scc1 .LBB82_93
; %bb.77:                               ;   in Loop: Header=BB82_76 Depth=1
	global_load_ubyte v86, v74, s[20:21] sc1
	s_waitcnt vmcnt(0)
	v_cmp_eq_u16_e32 vcc, 0, v86
	s_and_saveexec_b64 s[14:15], vcc
	s_cbranch_execz .LBB82_81
; %bb.78:                               ;   in Loop: Header=BB82_76 Depth=1
	v_lshl_add_u64 v[70:71], s[20:21], 0, v[74:75]
	s_mov_b64 s[22:23], 0
.LBB82_79:                              ;   Parent Loop BB82_76 Depth=1
                                        ; =>  This Inner Loop Header: Depth=2
	global_load_ubyte v86, v[70:71], off sc1
	s_waitcnt vmcnt(0)
	v_cmp_ne_u16_e32 vcc, 0, v86
	s_or_b64 s[22:23], vcc, s[22:23]
	s_andn2_b64 exec, exec, s[22:23]
	s_cbranch_execnz .LBB82_79
; %bb.80:                               ;   in Loop: Header=BB82_76 Depth=1
	s_or_b64 exec, exec, s[22:23]
.LBB82_81:                              ;   in Loop: Header=BB82_76 Depth=1
	s_or_b64 exec, exec, s[14:15]
	v_mov_b32_e32 v70, s11
	v_mov_b32_e32 v71, s9
	v_cmp_eq_u16_e32 vcc, 1, v86
	v_mov_b32_e32 v72, s8
	s_waitcnt vmcnt(0)
	v_cndmask_b32_e32 v71, v70, v71, vcc
	v_mov_b32_e32 v70, s10
	v_cndmask_b32_e32 v70, v70, v72, vcc
	v_lshl_add_u64 v[78:79], v[74:75], 4, v[70:71]
	global_load_dword v72, v[78:79], off sc1
	global_load_dword v73, v[78:79], off offset:4 sc1
	global_load_dword v70, v[78:79], off offset:8 sc1
	;; [unrolled: 1-line block ×3, first 2 shown]
	v_cmp_eq_u16_e32 vcc, 2, v86
	s_waitcnt vmcnt(3)
	ds_bpermute_b32 v80, v87, v72
	v_and_b32_e32 v78, vcc_hi, v77
	v_or_b32_e32 v78, 0x80000000, v78
	v_ffbl_b32_e32 v101, v78
	s_waitcnt vmcnt(2)
	ds_bpermute_b32 v81, v87, v73
	s_waitcnt vmcnt(1)
	ds_bpermute_b32 v78, v87, v70
	;; [unrolled: 2-line block ×3, first 2 shown]
	v_and_b32_e32 v100, vcc_lo, v76
	v_add_u32_e32 v101, 32, v101
	v_ffbl_b32_e32 v100, v100
	v_min_u32_e32 v100, v100, v101
	v_cmp_le_u32_e32 vcc, v88, v100
	s_and_saveexec_b64 s[14:15], vcc
	s_cbranch_execz .LBB82_83
; %bb.82:                               ;   in Loop: Header=BB82_76 Depth=1
	s_waitcnt lgkmcnt(2)
	v_add_f64 v[72:73], v[72:73], v[80:81]
	s_waitcnt lgkmcnt(0)
	v_add_f64 v[70:71], v[70:71], v[78:79]
.LBB82_83:                              ;   in Loop: Header=BB82_76 Depth=1
	s_or_b64 exec, exec, s[14:15]
	s_waitcnt lgkmcnt(3)
	ds_bpermute_b32 v80, v89, v72
	s_waitcnt lgkmcnt(3)
	ds_bpermute_b32 v81, v89, v73
	s_waitcnt lgkmcnt(3)
	ds_bpermute_b32 v78, v89, v70
	s_waitcnt lgkmcnt(3)
	ds_bpermute_b32 v79, v89, v71
	v_cmp_le_u32_e32 vcc, v90, v100
	s_and_saveexec_b64 s[14:15], vcc
	s_cbranch_execz .LBB82_85
; %bb.84:                               ;   in Loop: Header=BB82_76 Depth=1
	s_waitcnt lgkmcnt(2)
	v_add_f64 v[72:73], v[72:73], v[80:81]
	s_waitcnt lgkmcnt(0)
	v_add_f64 v[70:71], v[70:71], v[78:79]
.LBB82_85:                              ;   in Loop: Header=BB82_76 Depth=1
	s_or_b64 exec, exec, s[14:15]
	s_waitcnt lgkmcnt(3)
	ds_bpermute_b32 v80, v91, v72
	s_waitcnt lgkmcnt(3)
	ds_bpermute_b32 v81, v91, v73
	s_waitcnt lgkmcnt(3)
	ds_bpermute_b32 v78, v91, v70
	s_waitcnt lgkmcnt(3)
	ds_bpermute_b32 v79, v91, v71
	;; [unrolled: 18-line block ×5, first 2 shown]
	v_cmp_le_u32_e32 vcc, v98, v100
	s_and_saveexec_b64 s[14:15], vcc
	s_cbranch_execz .LBB82_75
; %bb.92:                               ;   in Loop: Header=BB82_76 Depth=1
	s_waitcnt lgkmcnt(2)
	v_add_f64 v[72:73], v[72:73], v[80:81]
	s_waitcnt lgkmcnt(0)
	v_add_f64 v[70:71], v[70:71], v[78:79]
	s_branch .LBB82_75
.LBB82_93:                              ;   in Loop: Header=BB82_76 Depth=1
                                        ; implicit-def: $vgpr86
                                        ; implicit-def: $vgpr78_vgpr79
                                        ; implicit-def: $vgpr70_vgpr71_vgpr72_vgpr73
	s_cbranch_execz .LBB82_76
; %bb.94:
	s_and_saveexec_b64 s[8:9], s[4:5]
	s_cbranch_execz .LBB82_96
; %bb.95:
	s_add_i32 s2, s2, 64
	s_mov_b32 s3, 0
	s_lshl_b64 s[14:15], s[2:3], 4
	s_add_u32 s14, s10, s14
	v_add_f64 v[62:63], v[62:63], v[66:67]
	s_addc_u32 s15, s11, s15
	v_mov_b32_e32 v70, 0
	v_add_f64 v[64:65], v[64:65], v[68:69]
	global_store_dword v70, v62, s[14:15] sc1
	global_store_dword v70, v63, s[14:15] offset:4 sc1
	global_store_dword v70, v64, s[14:15] offset:8 sc1
	;; [unrolled: 1-line block ×3, first 2 shown]
	v_mov_b32_e32 v62, s2
	v_mov_b32_e32 v63, 2
	s_waitcnt vmcnt(0)
	global_store_byte v62, v63, s[20:21] sc1
.LBB82_96:
	s_or_b64 exec, exec, s[8:9]
	v_cmp_eq_u32_e32 vcc, 0, v0
	s_and_b64 exec, exec, vcc
	s_cbranch_execz .LBB82_98
; %bb.97:
	v_mov_b32_e32 v62, 0
	ds_write_b128 v62, v[66:69] offset:48
.LBB82_98:
	s_or_b64 exec, exec, s[12:13]
	s_waitcnt lgkmcnt(3)
	v_cndmask_b32_e64 v62, v83, v58, s[4:5]
	v_mov_b32_e32 v58, 0
	s_waitcnt lgkmcnt(2)
	v_cndmask_b32_e64 v63, v85, v59, s[4:5]
	s_waitcnt lgkmcnt(0)
	v_cndmask_b32_e64 v65, v84, v61, s[4:5]
	v_cndmask_b32_e64 v64, v82, v60, s[4:5]
	s_barrier
	ds_read_b128 v[58:61], v58 offset:48
	v_add_f64 v[62:63], v[2:3], v[62:63]
	v_add_f64 v[64:65], v[4:5], v[64:65]
	v_cmp_eq_u32_e32 vcc, 0, v0
	s_nop 1
	v_cndmask_b32_e32 v65, v65, v5, vcc
	v_cndmask_b32_e32 v64, v64, v4, vcc
	;; [unrolled: 1-line block ×4, first 2 shown]
	s_waitcnt lgkmcnt(0)
	v_add_f64 v[110:111], v[62:63], v[58:59]
	v_add_f64 v[112:113], v[64:65], v[60:61]
	;; [unrolled: 1-line block ×28, first 2 shown]
	s_load_dwordx4 s[12:15], s[0:1], 0x58
	s_branch .LBB82_129
.LBB82_99:
                                        ; implicit-def: $vgpr110_vgpr111
                                        ; implicit-def: $vgpr66_vgpr67
                                        ; implicit-def: $vgpr62_vgpr63
                                        ; implicit-def: $vgpr58_vgpr59
                                        ; implicit-def: $vgpr70_vgpr71
                                        ; implicit-def: $vgpr74_vgpr75
                                        ; implicit-def: $vgpr78_vgpr79
                                        ; implicit-def: $vgpr82_vgpr83
                                        ; implicit-def: $vgpr86_vgpr87
                                        ; implicit-def: $vgpr90_vgpr91
                                        ; implicit-def: $vgpr94_vgpr95
                                        ; implicit-def: $vgpr98_vgpr99
                                        ; implicit-def: $vgpr102_vgpr103
                                        ; implicit-def: $vgpr106_vgpr107
	s_load_dwordx4 s[12:15], s[0:1], 0x58
	s_cbranch_execz .LBB82_129
; %bb.100:
	s_load_dword s4, s[0:1], 0x68
	v_cmp_eq_u32_e32 vcc, 0, v0
	v_cmp_ne_u32_e64 s[2:3], 0, v0
	s_waitcnt lgkmcnt(0)
	s_bitcmp1_b32 s4, 0
	s_cselect_b64 s[4:5], -1, 0
	s_and_b64 s[8:9], vcc, s[4:5]
	s_and_saveexec_b64 s[4:5], s[8:9]
	s_cbranch_execz .LBB82_102
; %bb.101:
	v_mov_b32_e32 v58, 0
	global_load_dwordx4 v[58:61], v58, s[12:13]
	s_waitcnt vmcnt(0)
	v_add_f64 v[2:3], v[2:3], v[58:59]
	v_add_f64 v[4:5], v[4:5], v[60:61]
.LBB82_102:
	s_or_b64 exec, exec, s[4:5]
	v_add_f64 v[66:67], v[14:15], v[2:3]
	v_add_f64 v[68:69], v[16:17], v[4:5]
	;; [unrolled: 1-line block ×24, first 2 shown]
	v_mbcnt_hi_u32_b32 v119, -1, v114
	v_add_f64 v[106:107], v[18:19], v[102:103]
	v_add_f64 v[108:109], v[20:21], v[104:105]
	v_and_b32_e32 v125, 15, v119
	v_mov_b32_dpp v120, v106 row_shr:1 row_mask:0xf bank_mask:0xf
	v_mov_b32_dpp v121, v107 row_shr:1 row_mask:0xf bank_mask:0xf
	;; [unrolled: 1-line block ×4, first 2 shown]
	v_cmp_ne_u32_e64 s[4:5], 0, v125
	v_mov_b64_e32 v[110:111], v[106:107]
	v_mov_b64_e32 v[112:113], v[108:109]
	v_mov_b32_e32 v115, v109
	v_mov_b32_e32 v114, v108
	;; [unrolled: 1-line block ×4, first 2 shown]
	s_and_saveexec_b64 s[8:9], s[4:5]
; %bb.103:
	v_add_f64 v[112:113], v[108:109], v[122:123]
	v_add_f64 v[110:111], v[106:107], v[120:121]
	v_mov_b32_e32 v115, v113
	v_mov_b32_e32 v114, v112
	;; [unrolled: 1-line block ×4, first 2 shown]
; %bb.104:
	s_or_b64 exec, exec, s[8:9]
	s_nop 0
	v_mov_b32_dpp v120, v116 row_shr:2 row_mask:0xf bank_mask:0xf
	v_mov_b32_dpp v121, v117 row_shr:2 row_mask:0xf bank_mask:0xf
	v_mov_b32_dpp v122, v114 row_shr:2 row_mask:0xf bank_mask:0xf
	v_mov_b32_dpp v123, v115 row_shr:2 row_mask:0xf bank_mask:0xf
	v_cmp_lt_u32_e64 s[4:5], 1, v125
	s_and_saveexec_b64 s[8:9], s[4:5]
; %bb.105:
	v_add_f64 v[114:115], v[112:113], v[122:123]
	v_add_f64 v[116:117], v[110:111], v[120:121]
	v_mov_b64_e32 v[110:111], v[116:117]
	v_mov_b64_e32 v[112:113], v[114:115]
; %bb.106:
	s_or_b64 exec, exec, s[8:9]
	v_mov_b32_dpp v120, v116 row_shr:4 row_mask:0xf bank_mask:0xf
	v_mov_b32_dpp v121, v117 row_shr:4 row_mask:0xf bank_mask:0xf
	v_mov_b32_dpp v122, v114 row_shr:4 row_mask:0xf bank_mask:0xf
	v_mov_b32_dpp v123, v115 row_shr:4 row_mask:0xf bank_mask:0xf
	v_cmp_lt_u32_e64 s[4:5], 3, v125
	s_and_saveexec_b64 s[8:9], s[4:5]
; %bb.107:
	v_add_f64 v[114:115], v[112:113], v[122:123]
	v_add_f64 v[116:117], v[110:111], v[120:121]
	v_mov_b64_e32 v[110:111], v[116:117]
	v_mov_b64_e32 v[112:113], v[114:115]
; %bb.108:
	s_or_b64 exec, exec, s[8:9]
	;; [unrolled: 13-line block ×3, first 2 shown]
	v_and_b32_e32 v125, 16, v119
	v_mov_b32_dpp v120, v116 row_bcast:15 row_mask:0xf bank_mask:0xf
	v_mov_b32_dpp v121, v117 row_bcast:15 row_mask:0xf bank_mask:0xf
	;; [unrolled: 1-line block ×4, first 2 shown]
	v_cmp_ne_u32_e64 s[4:5], 0, v125
	s_and_saveexec_b64 s[8:9], s[4:5]
; %bb.111:
	v_add_f64 v[112:113], v[112:113], v[122:123]
	v_add_f64 v[110:111], v[110:111], v[120:121]
	v_mov_b32_e32 v115, v113
	v_mov_b32_e32 v114, v112
	;; [unrolled: 1-line block ×4, first 2 shown]
; %bb.112:
	s_or_b64 exec, exec, s[8:9]
	s_nop 0
	v_mov_b32_dpp v116, v116 row_bcast:31 row_mask:0xf bank_mask:0xf
	v_mov_b32_dpp v117, v117 row_bcast:31 row_mask:0xf bank_mask:0xf
	;; [unrolled: 1-line block ×4, first 2 shown]
	v_cmp_lt_u32_e64 s[4:5], 31, v119
	s_and_saveexec_b64 s[8:9], s[4:5]
; %bb.113:
	v_add_f64 v[112:113], v[112:113], v[114:115]
	v_add_f64 v[110:111], v[110:111], v[116:117]
; %bb.114:
	s_or_b64 exec, exec, s[8:9]
	v_or_b32_e32 v114, 63, v0
	v_lshrrev_b32_e32 v125, 6, v0
	v_cmp_eq_u32_e64 s[4:5], v114, v0
	s_and_saveexec_b64 s[8:9], s[4:5]
	s_cbranch_execz .LBB82_116
; %bb.115:
	v_lshlrev_b32_e32 v114, 4, v125
	ds_write_b128 v114, v[110:113]
.LBB82_116:
	s_or_b64 exec, exec, s[8:9]
	v_cmp_gt_u32_e64 s[4:5], 4, v0
	s_waitcnt lgkmcnt(0)
	s_barrier
	s_and_saveexec_b64 s[8:9], s[4:5]
	s_cbranch_execz .LBB82_122
; %bb.117:
	s_movk_i32 s4, 0xff30
	v_mad_i32_i24 v114, v0, s4, v1
	ds_read_b128 v[114:117], v114
	v_and_b32_e32 v126, 3, v119
	v_cmp_ne_u32_e64 s[4:5], 0, v126
	s_waitcnt lgkmcnt(0)
	v_mov_b32_dpp v120, v114 row_shr:1 row_mask:0xf bank_mask:0xf
	v_mov_b32_dpp v121, v115 row_shr:1 row_mask:0xf bank_mask:0xf
	v_mov_b32_dpp v122, v116 row_shr:1 row_mask:0xf bank_mask:0xf
	v_mov_b32_dpp v123, v117 row_shr:1 row_mask:0xf bank_mask:0xf
	s_and_saveexec_b64 s[12:13], s[4:5]
; %bb.118:
	v_add_f64 v[116:117], v[116:117], v[122:123]
	v_add_f64 v[114:115], v[114:115], v[120:121]
; %bb.119:
	s_or_b64 exec, exec, s[12:13]
	v_mul_i32_i24_e32 v127, 0xffffff30, v0
	v_mov_b32_dpp v120, v114 row_shr:2 row_mask:0xf bank_mask:0xf
	v_mov_b32_dpp v121, v115 row_shr:2 row_mask:0xf bank_mask:0xf
	;; [unrolled: 1-line block ×4, first 2 shown]
	v_cmp_lt_u32_e64 s[4:5], 1, v126
	s_and_saveexec_b64 s[12:13], s[4:5]
; %bb.120:
	v_add_f64 v[116:117], v[116:117], v[122:123]
	v_add_f64 v[114:115], v[114:115], v[120:121]
; %bb.121:
	s_or_b64 exec, exec, s[12:13]
	v_add_u32_e32 v120, v1, v127
	ds_write_b128 v120, v[114:117]
.LBB82_122:
	s_or_b64 exec, exec, s[8:9]
	v_mov_b64_e32 v[116:117], 0
	v_cmp_lt_u32_e64 s[4:5], 63, v0
	v_mov_b64_e32 v[114:115], v[116:117]
	s_waitcnt lgkmcnt(0)
	s_barrier
	s_and_saveexec_b64 s[8:9], s[4:5]
	s_cbranch_execz .LBB82_124
; %bb.123:
	v_lshl_add_u32 v114, v125, 4, -16
	ds_read_b128 v[114:117], v114
	s_waitcnt lgkmcnt(0)
	v_add_f64 v[110:111], v[110:111], v[114:115]
	v_add_f64 v[112:113], v[112:113], v[116:117]
.LBB82_124:
	s_or_b64 exec, exec, s[8:9]
	v_add_u32_e32 v120, -1, v119
	v_and_b32_e32 v121, 64, v119
	v_cmp_lt_i32_e64 s[4:5], v120, v121
	s_nop 1
	v_cndmask_b32_e64 v120, v120, v119, s[4:5]
	v_lshlrev_b32_e32 v120, 2, v120
	ds_bpermute_b32 v110, v120, v110
	ds_bpermute_b32 v111, v120, v111
	;; [unrolled: 1-line block ×4, first 2 shown]
	s_and_saveexec_b64 s[4:5], s[2:3]
	s_cbranch_execz .LBB82_126
; %bb.125:
	v_cmp_eq_u32_e64 s[2:3], 0, v119
	s_waitcnt lgkmcnt(0)
	s_nop 0
	v_cndmask_b32_e64 v59, v113, v117, s[2:3]
	v_cndmask_b32_e64 v58, v112, v116, s[2:3]
	;; [unrolled: 1-line block ×4, first 2 shown]
	v_add_f64 v[2:3], v[2:3], v[60:61]
	v_add_f64 v[4:5], v[4:5], v[58:59]
	;; [unrolled: 1-line block ×28, first 2 shown]
.LBB82_126:
	s_or_b64 exec, exec, s[4:5]
	s_and_saveexec_b64 s[2:3], vcc
	s_cbranch_execz .LBB82_128
; %bb.127:
	v_mov_b32_e32 v10, 0
	ds_read_b128 v[6:9], v10 offset:48
	s_waitcnt lgkmcnt(0)
	global_store_dword v10, v6, s[10:11] offset:1024 sc1
	global_store_dword v10, v7, s[10:11] offset:1028 sc1
	;; [unrolled: 1-line block ×4, first 2 shown]
	v_mov_b32_e32 v6, 2
	s_waitcnt vmcnt(0)
	global_store_byte v10, v6, s[20:21] offset:64 sc1
.LBB82_128:
	s_or_b64 exec, exec, s[2:3]
	s_waitcnt lgkmcnt(2)
	v_mov_b64_e32 v[110:111], v[2:3]
	s_waitcnt lgkmcnt(0)
	v_mov_b64_e32 v[112:113], v[4:5]
.LBB82_129:
	s_add_u32 s2, s6, s18
	s_addc_u32 s3, s7, s19
	s_mov_b64 s[4:5], -1
	s_and_b64 vcc, exec, s[16:17]
	s_waitcnt lgkmcnt(0)
	s_barrier
	s_cbranch_vccz .LBB82_131
; %bb.130:
	v_mov_b32_e32 v119, 0
	ds_write_b128 v1, v[110:113]
	ds_write_b128 v1, v[66:69] offset:16
	ds_write_b128 v1, v[62:65] offset:32
	;; [unrolled: 1-line block ×13, first 2 shown]
	s_waitcnt lgkmcnt(0)
	s_barrier
	ds_read_b128 v[2:5], v118
	ds_read_b128 v[6:9], v118 offset:4096
	ds_read_b128 v[10:13], v118 offset:8192
	;; [unrolled: 1-line block ×13, first 2 shown]
	v_lshl_add_u64 v[114:115], s[2:3], 0, v[118:119]
	s_movk_i32 s4, 0x2000
	s_waitcnt lgkmcnt(13)
	global_store_dwordx4 v118, v[2:5], s[2:3]
	s_nop 1
	v_add_co_u32_e32 v2, vcc, s4, v114
	s_movk_i32 s4, 0x4000
	s_nop 0
	v_addc_co_u32_e32 v3, vcc, 0, v115, vcc
	s_waitcnt lgkmcnt(12)
	global_store_dwordx4 v[2:3], v[6:9], off offset:-4096
	s_waitcnt lgkmcnt(11)
	global_store_dwordx4 v[2:3], v[10:13], off
	v_add_co_u32_e32 v2, vcc, s4, v114
	s_movk_i32 s4, 0x6000
	s_nop 0
	v_addc_co_u32_e32 v3, vcc, 0, v115, vcc
	s_waitcnt lgkmcnt(10)
	global_store_dwordx4 v[2:3], v[14:17], off offset:-4096
	s_waitcnt lgkmcnt(9)
	global_store_dwordx4 v[2:3], v[18:21], off
	v_add_co_u32_e32 v2, vcc, s4, v114
	s_mov_b32 s4, 0x8000
	s_nop 0
	v_addc_co_u32_e32 v3, vcc, 0, v115, vcc
	s_waitcnt lgkmcnt(8)
	global_store_dwordx4 v[2:3], v[22:25], off offset:-4096
	s_waitcnt lgkmcnt(7)
	global_store_dwordx4 v[2:3], v[26:29], off
	v_add_co_u32_e32 v2, vcc, s4, v114
	s_mov_b32 s4, 0xa000
	s_nop 0
	v_addc_co_u32_e32 v3, vcc, 0, v115, vcc
	s_waitcnt lgkmcnt(6)
	global_store_dwordx4 v[2:3], v[30:33], off offset:-4096
	s_waitcnt lgkmcnt(5)
	global_store_dwordx4 v[2:3], v[34:37], off
	v_add_co_u32_e32 v2, vcc, s4, v114
	s_mov_b64 s[4:5], 0
	s_nop 0
	v_addc_co_u32_e32 v3, vcc, 0, v115, vcc
	s_waitcnt lgkmcnt(4)
	global_store_dwordx4 v[2:3], v[38:41], off offset:-4096
	s_waitcnt lgkmcnt(3)
	global_store_dwordx4 v[2:3], v[42:45], off
	v_add_co_u32_e32 v2, vcc, 0xb000, v114
	s_nop 1
	v_addc_co_u32_e32 v3, vcc, 0, v115, vcc
	s_waitcnt lgkmcnt(2)
	global_store_dwordx4 v[2:3], v[46:49], off
	v_add_co_u32_e32 v2, vcc, 0xc000, v114
	s_nop 1
	v_addc_co_u32_e32 v3, vcc, 0, v115, vcc
	;; [unrolled: 5-line block ×3, first 2 shown]
	s_waitcnt lgkmcnt(0)
	global_store_dwordx4 v[2:3], v[54:57], off
.LBB82_131:
	s_andn2_b64 vcc, exec, s[4:5]
	s_cbranch_vccnz .LBB82_211
; %bb.132:
	ds_write_b128 v1, v[110:113]
	ds_write_b128 v1, v[66:69] offset:16
	ds_write_b128 v1, v[62:65] offset:32
	;; [unrolled: 1-line block ×13, first 2 shown]
	s_waitcnt lgkmcnt(0)
	s_barrier
	ds_read_b128 v[6:9], v118
	ds_read_b128 v[2:5], v118 offset:4096
	ds_read_b128 v[10:13], v118 offset:8192
	;; [unrolled: 1-line block ×13, first 2 shown]
	v_mov_b32_e32 v119, 0
	v_lshl_add_u64 v[58:59], s[2:3], 0, v[118:119]
	v_cmp_gt_u32_e32 vcc, s24, v0
	s_and_saveexec_b64 s[2:3], vcc
	s_cbranch_execz .LBB82_134
; %bb.133:
	s_waitcnt lgkmcnt(13)
	global_store_dwordx4 v[58:59], v[6:9], off
.LBB82_134:
	s_or_b64 exec, exec, s[2:3]
	v_or_b32_e32 v1, 0x100, v0
	v_cmp_gt_u32_e32 vcc, s24, v1
	s_and_saveexec_b64 s[2:3], vcc
	s_cbranch_execz .LBB82_136
; %bb.135:
	v_add_co_u32_e32 v60, vcc, 0x1000, v58
	s_nop 1
	v_addc_co_u32_e32 v61, vcc, 0, v59, vcc
	s_waitcnt lgkmcnt(12)
	global_store_dwordx4 v[60:61], v[2:5], off
.LBB82_136:
	s_or_b64 exec, exec, s[2:3]
	v_or_b32_e32 v1, 0x200, v0
	v_cmp_gt_u32_e32 vcc, s24, v1
	s_and_saveexec_b64 s[2:3], vcc
	s_cbranch_execz .LBB82_138
; %bb.137:
	v_add_co_u32_e32 v60, vcc, 0x2000, v58
	s_nop 1
	v_addc_co_u32_e32 v61, vcc, 0, v59, vcc
	s_waitcnt lgkmcnt(11)
	global_store_dwordx4 v[60:61], v[10:13], off
.LBB82_138:
	;; [unrolled: 12-line block ×13, first 2 shown]
	s_or_b64 exec, exec, s[2:3]
	s_load_dword s0, s[0:1], 0x68
	s_waitcnt lgkmcnt(0)
	s_bfe_u32 s0, s0, 0x10008
	s_cmp_eq_u32 s0, 0
	s_cbranch_scc1 .LBB82_211
; %bb.161:
	s_add_u32 s0, s24, -1
	s_addc_u32 s1, s25, -1
	s_add_u32 s2, 0, 0x49240800
	s_addc_u32 s3, 0, 50
	s_add_i32 s3, s3, 0x12492460
	s_mul_hi_u32 s7, s2, -14
	s_sub_i32 s7, s7, s2
	s_mul_i32 s8, s3, -14
	s_mul_i32 s4, s2, -14
	s_add_i32 s7, s7, s8
	s_mul_hi_u32 s5, s3, s4
	s_mul_i32 s6, s3, s4
	s_mul_i32 s9, s2, s7
	s_mul_hi_u32 s4, s2, s4
	s_mul_hi_u32 s8, s2, s7
	s_add_u32 s4, s4, s9
	s_addc_u32 s8, 0, s8
	s_add_u32 s4, s4, s6
	s_mul_hi_u32 s9, s3, s7
	s_addc_u32 s4, s8, s5
	s_addc_u32 s5, s9, 0
	s_mul_i32 s6, s3, s7
	s_add_u32 s4, s4, s6
	v_mov_b32_e32 v58, s4
	s_addc_u32 s5, 0, s5
	v_add_co_u32_e32 v58, vcc, s2, v58
	s_cmp_lg_u64 vcc, 0
	s_addc_u32 s2, s3, s5
	v_readfirstlane_b32 s5, v58
	s_mul_i32 s4, s0, s2
	s_mul_hi_u32 s6, s0, s5
	s_mul_hi_u32 s3, s0, s2
	s_add_u32 s4, s6, s4
	s_addc_u32 s3, 0, s3
	s_mul_hi_u32 s7, s1, s5
	s_mul_i32 s5, s1, s5
	s_add_u32 s4, s4, s5
	s_mul_hi_u32 s6, s1, s2
	s_addc_u32 s3, s3, s7
	s_addc_u32 s4, s6, 0
	s_mul_i32 s2, s1, s2
	s_add_u32 s2, s3, s2
	s_addc_u32 s3, 0, s4
	s_add_u32 s4, s2, 1
	s_addc_u32 s5, s3, 0
	s_add_u32 s6, s2, 2
	s_mul_i32 s8, s3, 14
	s_mul_hi_u32 s9, s2, 14
	s_addc_u32 s7, s3, 0
	s_add_i32 s9, s9, s8
	s_mul_i32 s8, s2, 14
	v_mov_b32_e32 v58, s8
	v_sub_co_u32_e32 v58, vcc, s0, v58
	s_cmp_lg_u64 vcc, 0
	s_subb_u32 s8, s1, s9
	v_subrev_co_u32_e32 v59, vcc, 14, v58
	s_cmp_lg_u64 vcc, 0
	s_subb_u32 s9, s8, 0
	v_readfirstlane_b32 s10, v59
	s_cmp_gt_u32 s10, 13
	s_cselect_b32 s10, -1, 0
	s_cmp_eq_u32 s9, 0
	s_cselect_b32 s9, s10, -1
	s_cmp_lg_u32 s9, 0
	s_cselect_b32 s4, s6, s4
	v_readfirstlane_b32 s6, v58
	s_cselect_b32 s5, s7, s5
	s_cmp_gt_u32 s6, 13
	s_cselect_b32 s6, -1, 0
	s_cmp_eq_u32 s8, 0
	s_cselect_b32 s6, s6, -1
	s_cmp_lg_u32 s6, 0
	v_mov_b32_e32 v1, v119
	s_cselect_b32 s3, s5, s3
	s_cselect_b32 s2, s4, s2
	v_cmp_eq_u64_e32 vcc, s[2:3], v[0:1]
	s_and_saveexec_b64 s[2:3], vcc
	s_cbranch_execz .LBB82_211
; %bb.162:
	v_mul_hi_u32_u24_e32 v1, 14, v0
	v_mov_b32_e32 v58, s1
	v_sub_co_u32_e32 v0, vcc, s0, v124
	s_nop 1
	v_subb_co_u32_e32 v1, vcc, v58, v1, vcc
	v_cmp_lt_i64_e32 vcc, 6, v[0:1]
	s_and_saveexec_b64 s[0:1], vcc
	s_xor_b64 s[0:1], exec, s[0:1]
	s_cbranch_execz .LBB82_188
; %bb.163:
	v_cmp_lt_i64_e32 vcc, 9, v[0:1]
	s_and_saveexec_b64 s[2:3], vcc
	s_xor_b64 s[2:3], exec, s[2:3]
	s_cbranch_execz .LBB82_177
; %bb.164:
	;; [unrolled: 5-line block ×4, first 2 shown]
	v_mov_b32_e32 v0, 0
	global_store_dwordx4 v0, v[54:57], s[14:15]
                                        ; implicit-def: $vgpr50_vgpr51_vgpr52_vgpr53
.LBB82_167:
	s_andn2_saveexec_b64 s[6:7], s[6:7]
	s_cbranch_execz .LBB82_169
; %bb.168:
	v_mov_b32_e32 v0, 0
	global_store_dwordx4 v0, v[50:53], s[14:15]
.LBB82_169:
	s_or_b64 exec, exec, s[6:7]
                                        ; implicit-def: $vgpr26_vgpr27_vgpr28_vgpr29
                                        ; implicit-def: $vgpr0_vgpr1
                                        ; implicit-def: $vgpr46_vgpr47_vgpr48_vgpr49
.LBB82_170:
	s_andn2_saveexec_b64 s[4:5], s[4:5]
	s_cbranch_execz .LBB82_176
; %bb.171:
	v_cmp_lt_i64_e32 vcc, 10, v[0:1]
	s_and_saveexec_b64 s[6:7], vcc
	s_xor_b64 s[6:7], exec, s[6:7]
	s_cbranch_execz .LBB82_173
; %bb.172:
	v_mov_b32_e32 v0, 0
	global_store_dwordx4 v0, v[46:49], s[14:15]
                                        ; implicit-def: $vgpr26_vgpr27_vgpr28_vgpr29
.LBB82_173:
	s_andn2_saveexec_b64 s[6:7], s[6:7]
	s_cbranch_execz .LBB82_175
; %bb.174:
	v_mov_b32_e32 v0, 0
	global_store_dwordx4 v0, v[26:29], s[14:15]
.LBB82_175:
	s_or_b64 exec, exec, s[6:7]
.LBB82_176:
	s_or_b64 exec, exec, s[4:5]
                                        ; implicit-def: $vgpr38_vgpr39_vgpr40_vgpr41
                                        ; implicit-def: $vgpr0_vgpr1
                                        ; implicit-def: $vgpr30_vgpr31_vgpr32_vgpr33
                                        ; implicit-def: $vgpr42_vgpr43_vgpr44_vgpr45
.LBB82_177:
	s_andn2_saveexec_b64 s[2:3], s[2:3]
	s_cbranch_execz .LBB82_187
; %bb.178:
	v_cmp_lt_i64_e32 vcc, 7, v[0:1]
	s_and_saveexec_b64 s[4:5], vcc
	s_xor_b64 s[4:5], exec, s[4:5]
	s_cbranch_execz .LBB82_184
; %bb.179:
	v_cmp_lt_i64_e32 vcc, 8, v[0:1]
	s_and_saveexec_b64 s[6:7], vcc
	s_xor_b64 s[6:7], exec, s[6:7]
	s_cbranch_execz .LBB82_181
; %bb.180:
	v_mov_b32_e32 v0, 0
	global_store_dwordx4 v0, v[42:45], s[14:15]
                                        ; implicit-def: $vgpr30_vgpr31_vgpr32_vgpr33
.LBB82_181:
	s_andn2_saveexec_b64 s[6:7], s[6:7]
	s_cbranch_execz .LBB82_183
; %bb.182:
	v_mov_b32_e32 v0, 0
	global_store_dwordx4 v0, v[30:33], s[14:15]
.LBB82_183:
	s_or_b64 exec, exec, s[6:7]
                                        ; implicit-def: $vgpr38_vgpr39_vgpr40_vgpr41
.LBB82_184:
	s_andn2_saveexec_b64 s[4:5], s[4:5]
	s_cbranch_execz .LBB82_186
; %bb.185:
	v_mov_b32_e32 v0, 0
	global_store_dwordx4 v0, v[38:41], s[14:15]
.LBB82_186:
	s_or_b64 exec, exec, s[4:5]
.LBB82_187:
	s_or_b64 exec, exec, s[2:3]
                                        ; implicit-def: $vgpr0_vgpr1
                                        ; implicit-def: $vgpr22_vgpr23_vgpr24_vgpr25
                                        ; implicit-def: $vgpr2_vgpr3_vgpr4_vgpr5
                                        ; implicit-def: $vgpr10_vgpr11_vgpr12_vgpr13
                                        ; implicit-def: $vgpr6_vgpr7_vgpr8_vgpr9
                                        ; implicit-def: $vgpr18_vgpr19_vgpr20_vgpr21
                                        ; implicit-def: $vgpr14_vgpr15_vgpr16_vgpr17
                                        ; implicit-def: $vgpr34_vgpr35_vgpr36_vgpr37
.LBB82_188:
	s_andn2_saveexec_b64 s[0:1], s[0:1]
	s_cbranch_execz .LBB82_211
; %bb.189:
	v_cmp_lt_i64_e32 vcc, 3, v[0:1]
	s_and_saveexec_b64 s[0:1], vcc
	s_xor_b64 s[0:1], exec, s[0:1]
	s_cbranch_execz .LBB82_199
; %bb.190:
	v_cmp_lt_i64_e32 vcc, 4, v[0:1]
	s_and_saveexec_b64 s[2:3], vcc
	s_xor_b64 s[2:3], exec, s[2:3]
	;; [unrolled: 5-line block ×3, first 2 shown]
	s_cbranch_execz .LBB82_193
; %bb.192:
	v_mov_b32_e32 v0, 0
	global_store_dwordx4 v0, v[34:37], s[14:15]
                                        ; implicit-def: $vgpr18_vgpr19_vgpr20_vgpr21
.LBB82_193:
	s_andn2_saveexec_b64 s[4:5], s[4:5]
	s_cbranch_execz .LBB82_195
; %bb.194:
	v_mov_b32_e32 v0, 0
	global_store_dwordx4 v0, v[18:21], s[14:15]
.LBB82_195:
	s_or_b64 exec, exec, s[4:5]
                                        ; implicit-def: $vgpr22_vgpr23_vgpr24_vgpr25
.LBB82_196:
	s_andn2_saveexec_b64 s[2:3], s[2:3]
	s_cbranch_execz .LBB82_198
; %bb.197:
	v_mov_b32_e32 v0, 0
	global_store_dwordx4 v0, v[22:25], s[14:15]
.LBB82_198:
	s_or_b64 exec, exec, s[2:3]
                                        ; implicit-def: $vgpr0_vgpr1
                                        ; implicit-def: $vgpr2_vgpr3_vgpr4_vgpr5
                                        ; implicit-def: $vgpr10_vgpr11_vgpr12_vgpr13
                                        ; implicit-def: $vgpr6_vgpr7_vgpr8_vgpr9
                                        ; implicit-def: $vgpr14_vgpr15_vgpr16_vgpr17
.LBB82_199:
	s_andn2_saveexec_b64 s[0:1], s[0:1]
	s_cbranch_execz .LBB82_211
; %bb.200:
	v_cmp_lt_i64_e32 vcc, 1, v[0:1]
	s_and_saveexec_b64 s[0:1], vcc
	s_xor_b64 s[0:1], exec, s[0:1]
	s_cbranch_execz .LBB82_206
; %bb.201:
	v_cmp_lt_i64_e32 vcc, 2, v[0:1]
	s_and_saveexec_b64 s[2:3], vcc
	s_xor_b64 s[2:3], exec, s[2:3]
	s_cbranch_execz .LBB82_203
; %bb.202:
	v_mov_b32_e32 v0, 0
	global_store_dwordx4 v0, v[14:17], s[14:15]
                                        ; implicit-def: $vgpr10_vgpr11_vgpr12_vgpr13
.LBB82_203:
	s_andn2_saveexec_b64 s[2:3], s[2:3]
	s_cbranch_execz .LBB82_205
; %bb.204:
	v_mov_b32_e32 v0, 0
	global_store_dwordx4 v0, v[10:13], s[14:15]
.LBB82_205:
	s_or_b64 exec, exec, s[2:3]
                                        ; implicit-def: $vgpr2_vgpr3_vgpr4_vgpr5
                                        ; implicit-def: $vgpr0_vgpr1
                                        ; implicit-def: $vgpr6_vgpr7_vgpr8_vgpr9
.LBB82_206:
	s_andn2_saveexec_b64 s[0:1], s[0:1]
	s_cbranch_execz .LBB82_211
; %bb.207:
	v_cmp_ne_u64_e32 vcc, 1, v[0:1]
	s_and_saveexec_b64 s[0:1], vcc
	s_xor_b64 s[0:1], exec, s[0:1]
	s_cbranch_execz .LBB82_209
; %bb.208:
	v_mov_b32_e32 v0, 0
	global_store_dwordx4 v0, v[6:9], s[14:15]
                                        ; implicit-def: $vgpr2_vgpr3_vgpr4_vgpr5
.LBB82_209:
	s_andn2_saveexec_b64 s[0:1], s[0:1]
	s_cbranch_execz .LBB82_211
; %bb.210:
	v_mov_b32_e32 v0, 0
	global_store_dwordx4 v0, v[2:5], s[14:15]
.LBB82_211:
	s_endpgm
	.section	.rodata,"a",@progbits
	.p2align	6, 0x0
	.amdhsa_kernel _ZN7rocprim17ROCPRIM_304000_NS6detail20lookback_scan_kernelILNS1_25lookback_scan_determinismE0ELb0ENS1_19wrapped_scan_configINS0_14default_configEN3c107complexIdEEEEPKS8_PS8_St4plusIS8_ES8_S8_NS1_19lookback_scan_stateIS8_Lb0ELb0EEEEEvT2_T3_mT5_T4_T7_jPT6_SN_bb
		.amdhsa_group_segment_fixed_size 57344
		.amdhsa_private_segment_fixed_size 0
		.amdhsa_kernarg_size 108
		.amdhsa_user_sgpr_count 2
		.amdhsa_user_sgpr_dispatch_ptr 0
		.amdhsa_user_sgpr_queue_ptr 0
		.amdhsa_user_sgpr_kernarg_segment_ptr 1
		.amdhsa_user_sgpr_dispatch_id 0
		.amdhsa_user_sgpr_kernarg_preload_length 0
		.amdhsa_user_sgpr_kernarg_preload_offset 0
		.amdhsa_user_sgpr_private_segment_size 0
		.amdhsa_uses_dynamic_stack 0
		.amdhsa_enable_private_segment 0
		.amdhsa_system_sgpr_workgroup_id_x 1
		.amdhsa_system_sgpr_workgroup_id_y 0
		.amdhsa_system_sgpr_workgroup_id_z 0
		.amdhsa_system_sgpr_workgroup_info 0
		.amdhsa_system_vgpr_workitem_id 0
		.amdhsa_next_free_vgpr 128
		.amdhsa_next_free_sgpr 28
		.amdhsa_accum_offset 128
		.amdhsa_reserve_vcc 1
		.amdhsa_float_round_mode_32 0
		.amdhsa_float_round_mode_16_64 0
		.amdhsa_float_denorm_mode_32 3
		.amdhsa_float_denorm_mode_16_64 3
		.amdhsa_dx10_clamp 1
		.amdhsa_ieee_mode 1
		.amdhsa_fp16_overflow 0
		.amdhsa_tg_split 0
		.amdhsa_exception_fp_ieee_invalid_op 0
		.amdhsa_exception_fp_denorm_src 0
		.amdhsa_exception_fp_ieee_div_zero 0
		.amdhsa_exception_fp_ieee_overflow 0
		.amdhsa_exception_fp_ieee_underflow 0
		.amdhsa_exception_fp_ieee_inexact 0
		.amdhsa_exception_int_div_zero 0
	.end_amdhsa_kernel
	.section	.text._ZN7rocprim17ROCPRIM_304000_NS6detail20lookback_scan_kernelILNS1_25lookback_scan_determinismE0ELb0ENS1_19wrapped_scan_configINS0_14default_configEN3c107complexIdEEEEPKS8_PS8_St4plusIS8_ES8_S8_NS1_19lookback_scan_stateIS8_Lb0ELb0EEEEEvT2_T3_mT5_T4_T7_jPT6_SN_bb,"axG",@progbits,_ZN7rocprim17ROCPRIM_304000_NS6detail20lookback_scan_kernelILNS1_25lookback_scan_determinismE0ELb0ENS1_19wrapped_scan_configINS0_14default_configEN3c107complexIdEEEEPKS8_PS8_St4plusIS8_ES8_S8_NS1_19lookback_scan_stateIS8_Lb0ELb0EEEEEvT2_T3_mT5_T4_T7_jPT6_SN_bb,comdat
.Lfunc_end82:
	.size	_ZN7rocprim17ROCPRIM_304000_NS6detail20lookback_scan_kernelILNS1_25lookback_scan_determinismE0ELb0ENS1_19wrapped_scan_configINS0_14default_configEN3c107complexIdEEEEPKS8_PS8_St4plusIS8_ES8_S8_NS1_19lookback_scan_stateIS8_Lb0ELb0EEEEEvT2_T3_mT5_T4_T7_jPT6_SN_bb, .Lfunc_end82-_ZN7rocprim17ROCPRIM_304000_NS6detail20lookback_scan_kernelILNS1_25lookback_scan_determinismE0ELb0ENS1_19wrapped_scan_configINS0_14default_configEN3c107complexIdEEEEPKS8_PS8_St4plusIS8_ES8_S8_NS1_19lookback_scan_stateIS8_Lb0ELb0EEEEEvT2_T3_mT5_T4_T7_jPT6_SN_bb
                                        ; -- End function
	.section	.AMDGPU.csdata,"",@progbits
; Kernel info:
; codeLenInByte = 8840
; NumSgprs: 34
; NumVgprs: 128
; NumAgprs: 0
; TotalNumVgprs: 128
; ScratchSize: 0
; MemoryBound: 1
; FloatMode: 240
; IeeeMode: 1
; LDSByteSize: 57344 bytes/workgroup (compile time only)
; SGPRBlocks: 4
; VGPRBlocks: 15
; NumSGPRsForWavesPerEU: 34
; NumVGPRsForWavesPerEU: 128
; AccumOffset: 128
; Occupancy: 1
; WaveLimiterHint : 1
; COMPUTE_PGM_RSRC2:SCRATCH_EN: 0
; COMPUTE_PGM_RSRC2:USER_SGPR: 2
; COMPUTE_PGM_RSRC2:TRAP_HANDLER: 0
; COMPUTE_PGM_RSRC2:TGID_X_EN: 1
; COMPUTE_PGM_RSRC2:TGID_Y_EN: 0
; COMPUTE_PGM_RSRC2:TGID_Z_EN: 0
; COMPUTE_PGM_RSRC2:TIDIG_COMP_CNT: 0
; COMPUTE_PGM_RSRC3_GFX90A:ACCUM_OFFSET: 31
; COMPUTE_PGM_RSRC3_GFX90A:TG_SPLIT: 0
	.section	.text._ZN7rocprim17ROCPRIM_304000_NS6detail16transform_kernelINS1_24wrapped_transform_configINS0_14default_configEN3c107complexIdEEEES7_PS7_S9_NS0_8identityIS7_EEEEvT1_mT2_T3_,"axG",@progbits,_ZN7rocprim17ROCPRIM_304000_NS6detail16transform_kernelINS1_24wrapped_transform_configINS0_14default_configEN3c107complexIdEEEES7_PS7_S9_NS0_8identityIS7_EEEEvT1_mT2_T3_,comdat
	.protected	_ZN7rocprim17ROCPRIM_304000_NS6detail16transform_kernelINS1_24wrapped_transform_configINS0_14default_configEN3c107complexIdEEEES7_PS7_S9_NS0_8identityIS7_EEEEvT1_mT2_T3_ ; -- Begin function _ZN7rocprim17ROCPRIM_304000_NS6detail16transform_kernelINS1_24wrapped_transform_configINS0_14default_configEN3c107complexIdEEEES7_PS7_S9_NS0_8identityIS7_EEEEvT1_mT2_T3_
	.globl	_ZN7rocprim17ROCPRIM_304000_NS6detail16transform_kernelINS1_24wrapped_transform_configINS0_14default_configEN3c107complexIdEEEES7_PS7_S9_NS0_8identityIS7_EEEEvT1_mT2_T3_
	.p2align	8
	.type	_ZN7rocprim17ROCPRIM_304000_NS6detail16transform_kernelINS1_24wrapped_transform_configINS0_14default_configEN3c107complexIdEEEES7_PS7_S9_NS0_8identityIS7_EEEEvT1_mT2_T3_,@function
_ZN7rocprim17ROCPRIM_304000_NS6detail16transform_kernelINS1_24wrapped_transform_configINS0_14default_configEN3c107complexIdEEEES7_PS7_S9_NS0_8identityIS7_EEEEvT1_mT2_T3_: ; @_ZN7rocprim17ROCPRIM_304000_NS6detail16transform_kernelINS1_24wrapped_transform_configINS0_14default_configEN3c107complexIdEEEES7_PS7_S9_NS0_8identityIS7_EEEEvT1_mT2_T3_
; %bb.0:
	s_load_dword s3, s[0:1], 0x20
	s_load_dwordx4 s[4:7], s[0:1], 0x0
	s_lshl_b32 s8, s2, 8
	s_waitcnt lgkmcnt(0)
	s_add_i32 s3, s3, -1
	s_cmp_lg_u32 s2, s3
	s_cselect_b64 s[2:3], -1, 0
	s_sub_i32 s6, s6, s8
	v_cmp_gt_u32_e32 vcc, s6, v0
	s_or_b64 s[2:3], vcc, s[2:3]
	s_and_saveexec_b64 s[6:7], s[2:3]
	s_cbranch_execz .LBB83_2
; %bb.1:
	s_load_dwordx2 s[0:1], s[0:1], 0x10
	s_mov_b32 s9, 0
	s_lshl_b64 s[2:3], s[8:9], 4
	v_lshlrev_b32_e32 v4, 4, v0
	s_waitcnt lgkmcnt(0)
	s_add_u32 s0, s0, s2
	s_addc_u32 s1, s1, s3
	s_add_u32 s2, s4, s2
	s_addc_u32 s3, s5, s3
	global_load_dwordx4 v[0:3], v4, s[2:3]
	s_waitcnt vmcnt(0)
	global_store_dwordx4 v4, v[0:3], s[0:1]
.LBB83_2:
	s_endpgm
	.section	.rodata,"a",@progbits
	.p2align	6, 0x0
	.amdhsa_kernel _ZN7rocprim17ROCPRIM_304000_NS6detail16transform_kernelINS1_24wrapped_transform_configINS0_14default_configEN3c107complexIdEEEES7_PS7_S9_NS0_8identityIS7_EEEEvT1_mT2_T3_
		.amdhsa_group_segment_fixed_size 0
		.amdhsa_private_segment_fixed_size 0
		.amdhsa_kernarg_size 288
		.amdhsa_user_sgpr_count 2
		.amdhsa_user_sgpr_dispatch_ptr 0
		.amdhsa_user_sgpr_queue_ptr 0
		.amdhsa_user_sgpr_kernarg_segment_ptr 1
		.amdhsa_user_sgpr_dispatch_id 0
		.amdhsa_user_sgpr_kernarg_preload_length 0
		.amdhsa_user_sgpr_kernarg_preload_offset 0
		.amdhsa_user_sgpr_private_segment_size 0
		.amdhsa_uses_dynamic_stack 0
		.amdhsa_enable_private_segment 0
		.amdhsa_system_sgpr_workgroup_id_x 1
		.amdhsa_system_sgpr_workgroup_id_y 0
		.amdhsa_system_sgpr_workgroup_id_z 0
		.amdhsa_system_sgpr_workgroup_info 0
		.amdhsa_system_vgpr_workitem_id 0
		.amdhsa_next_free_vgpr 5
		.amdhsa_next_free_sgpr 10
		.amdhsa_accum_offset 8
		.amdhsa_reserve_vcc 1
		.amdhsa_float_round_mode_32 0
		.amdhsa_float_round_mode_16_64 0
		.amdhsa_float_denorm_mode_32 3
		.amdhsa_float_denorm_mode_16_64 3
		.amdhsa_dx10_clamp 1
		.amdhsa_ieee_mode 1
		.amdhsa_fp16_overflow 0
		.amdhsa_tg_split 0
		.amdhsa_exception_fp_ieee_invalid_op 0
		.amdhsa_exception_fp_denorm_src 0
		.amdhsa_exception_fp_ieee_div_zero 0
		.amdhsa_exception_fp_ieee_overflow 0
		.amdhsa_exception_fp_ieee_underflow 0
		.amdhsa_exception_fp_ieee_inexact 0
		.amdhsa_exception_int_div_zero 0
	.end_amdhsa_kernel
	.section	.text._ZN7rocprim17ROCPRIM_304000_NS6detail16transform_kernelINS1_24wrapped_transform_configINS0_14default_configEN3c107complexIdEEEES7_PS7_S9_NS0_8identityIS7_EEEEvT1_mT2_T3_,"axG",@progbits,_ZN7rocprim17ROCPRIM_304000_NS6detail16transform_kernelINS1_24wrapped_transform_configINS0_14default_configEN3c107complexIdEEEES7_PS7_S9_NS0_8identityIS7_EEEEvT1_mT2_T3_,comdat
.Lfunc_end83:
	.size	_ZN7rocprim17ROCPRIM_304000_NS6detail16transform_kernelINS1_24wrapped_transform_configINS0_14default_configEN3c107complexIdEEEES7_PS7_S9_NS0_8identityIS7_EEEEvT1_mT2_T3_, .Lfunc_end83-_ZN7rocprim17ROCPRIM_304000_NS6detail16transform_kernelINS1_24wrapped_transform_configINS0_14default_configEN3c107complexIdEEEES7_PS7_S9_NS0_8identityIS7_EEEEvT1_mT2_T3_
                                        ; -- End function
	.section	.AMDGPU.csdata,"",@progbits
; Kernel info:
; codeLenInByte = 120
; NumSgprs: 16
; NumVgprs: 5
; NumAgprs: 0
; TotalNumVgprs: 5
; ScratchSize: 0
; MemoryBound: 0
; FloatMode: 240
; IeeeMode: 1
; LDSByteSize: 0 bytes/workgroup (compile time only)
; SGPRBlocks: 1
; VGPRBlocks: 0
; NumSGPRsForWavesPerEU: 16
; NumVGPRsForWavesPerEU: 5
; AccumOffset: 8
; Occupancy: 8
; WaveLimiterHint : 0
; COMPUTE_PGM_RSRC2:SCRATCH_EN: 0
; COMPUTE_PGM_RSRC2:USER_SGPR: 2
; COMPUTE_PGM_RSRC2:TRAP_HANDLER: 0
; COMPUTE_PGM_RSRC2:TGID_X_EN: 1
; COMPUTE_PGM_RSRC2:TGID_Y_EN: 0
; COMPUTE_PGM_RSRC2:TGID_Z_EN: 0
; COMPUTE_PGM_RSRC2:TIDIG_COMP_CNT: 0
; COMPUTE_PGM_RSRC3_GFX90A:ACCUM_OFFSET: 1
; COMPUTE_PGM_RSRC3_GFX90A:TG_SPLIT: 0
	.section	.text._ZN7rocprim17ROCPRIM_304000_NS6detail18single_scan_kernelILb0ENS1_19wrapped_scan_configINS0_14default_configEN3c107complexIdEEEEPKS7_PS7_St4plusIS7_ES7_S7_EEvT1_mT4_T2_T3_,"axG",@progbits,_ZN7rocprim17ROCPRIM_304000_NS6detail18single_scan_kernelILb0ENS1_19wrapped_scan_configINS0_14default_configEN3c107complexIdEEEEPKS7_PS7_St4plusIS7_ES7_S7_EEvT1_mT4_T2_T3_,comdat
	.protected	_ZN7rocprim17ROCPRIM_304000_NS6detail18single_scan_kernelILb0ENS1_19wrapped_scan_configINS0_14default_configEN3c107complexIdEEEEPKS7_PS7_St4plusIS7_ES7_S7_EEvT1_mT4_T2_T3_ ; -- Begin function _ZN7rocprim17ROCPRIM_304000_NS6detail18single_scan_kernelILb0ENS1_19wrapped_scan_configINS0_14default_configEN3c107complexIdEEEEPKS7_PS7_St4plusIS7_ES7_S7_EEvT1_mT4_T2_T3_
	.globl	_ZN7rocprim17ROCPRIM_304000_NS6detail18single_scan_kernelILb0ENS1_19wrapped_scan_configINS0_14default_configEN3c107complexIdEEEEPKS7_PS7_St4plusIS7_ES7_S7_EEvT1_mT4_T2_T3_
	.p2align	8
	.type	_ZN7rocprim17ROCPRIM_304000_NS6detail18single_scan_kernelILb0ENS1_19wrapped_scan_configINS0_14default_configEN3c107complexIdEEEEPKS7_PS7_St4plusIS7_ES7_S7_EEvT1_mT4_T2_T3_,@function
_ZN7rocprim17ROCPRIM_304000_NS6detail18single_scan_kernelILb0ENS1_19wrapped_scan_configINS0_14default_configEN3c107complexIdEEEEPKS7_PS7_St4plusIS7_ES7_S7_EEvT1_mT4_T2_T3_: ; @_ZN7rocprim17ROCPRIM_304000_NS6detail18single_scan_kernelILb0ENS1_19wrapped_scan_configINS0_14default_configEN3c107complexIdEEEEPKS7_PS7_St4plusIS7_ES7_S7_EEvT1_mT4_T2_T3_
; %bb.0:
	s_load_dwordx4 s[28:31], s[0:1], 0x0
	v_mov_b32_e32 v119, 0
	v_lshlrev_b32_e32 v118, 4, v0
	s_waitcnt lgkmcnt(0)
	s_load_dwordx4 s[36:39], s[28:29], 0x0
	v_lshl_add_u64 v[58:59], s[28:29], 0, v[118:119]
	v_cmp_gt_u32_e64 s[14:15], s30, v0
	s_waitcnt lgkmcnt(0)
	v_mov_b64_e32 v[4:5], s[38:39]
	v_mov_b64_e32 v[2:3], s[36:37]
	s_and_saveexec_b64 s[2:3], s[14:15]
	s_cbranch_execz .LBB84_2
; %bb.1:
	global_load_dwordx4 v[2:5], v[58:59], off
.LBB84_2:
	s_or_b64 exec, exec, s[2:3]
	v_or_b32_e32 v1, 0x100, v0
	v_cmp_gt_u32_e64 s[2:3], s30, v1
	v_mov_b64_e32 v[8:9], s[38:39]
	v_mov_b64_e32 v[6:7], s[36:37]
	s_and_saveexec_b64 s[4:5], s[2:3]
	s_cbranch_execz .LBB84_4
; %bb.3:
	v_add_co_u32_e32 v6, vcc, 0x1000, v58
	s_nop 1
	v_addc_co_u32_e32 v7, vcc, 0, v59, vcc
	global_load_dwordx4 v[6:9], v[6:7], off
.LBB84_4:
	s_or_b64 exec, exec, s[4:5]
	v_or_b32_e32 v1, 0x200, v0
	v_cmp_gt_u32_e64 s[4:5], s30, v1
	v_mov_b64_e32 v[12:13], s[38:39]
	v_mov_b64_e32 v[10:11], s[36:37]
	s_and_saveexec_b64 s[6:7], s[4:5]
	s_cbranch_execz .LBB84_6
; %bb.5:
	v_add_co_u32_e32 v10, vcc, 0x2000, v58
	s_nop 1
	v_addc_co_u32_e32 v11, vcc, 0, v59, vcc
	global_load_dwordx4 v[10:13], v[10:11], off
.LBB84_6:
	;; [unrolled: 13-line block ×13, first 2 shown]
	s_or_b64 exec, exec, s[30:31]
	s_movk_i32 s30, 0xd0
	v_mad_u32_u24 v1, v0, s30, v118
	s_waitcnt vmcnt(0)
	ds_write_b128 v118, v[2:5]
	ds_write_b128 v118, v[6:9] offset:4096
	ds_write_b128 v118, v[10:13] offset:8192
	;; [unrolled: 1-line block ×13, first 2 shown]
	s_waitcnt lgkmcnt(0)
	s_barrier
	ds_read_b128 v[2:5], v1
	ds_read_b128 v[34:37], v1 offset:16
	ds_read_b128 v[30:33], v1 offset:32
	;; [unrolled: 1-line block ×13, first 2 shown]
	s_waitcnt lgkmcnt(12)
	v_add_f64 v[74:75], v[2:3], v[34:35]
	v_add_f64 v[76:77], v[4:5], v[36:37]
	s_waitcnt lgkmcnt(11)
	v_add_f64 v[66:67], v[74:75], v[30:31]
	v_add_f64 v[68:69], v[76:77], v[32:33]
	;; [unrolled: 3-line block ×11, first 2 shown]
	v_mbcnt_lo_u32_b32 v110, -1, 0
	s_waitcnt lgkmcnt(1)
	v_add_f64 v[10:11], v[14:15], v[102:103]
	v_add_f64 v[12:13], v[16:17], v[104:105]
	v_mbcnt_hi_u32_b32 v119, -1, v110
	s_waitcnt lgkmcnt(0)
	v_add_f64 v[6:7], v[10:11], v[106:107]
	v_add_f64 v[8:9], v[12:13], v[108:109]
	v_and_b32_e32 v124, 15, v119
	v_mov_b32_dpp v120, v6 row_shr:1 row_mask:0xf bank_mask:0xf
	v_mov_b32_dpp v121, v7 row_shr:1 row_mask:0xf bank_mask:0xf
	;; [unrolled: 1-line block ×4, first 2 shown]
	v_cmp_ne_u32_e32 vcc, 0, v124
	v_mov_b64_e32 v[110:111], v[6:7]
	v_mov_b64_e32 v[112:113], v[8:9]
	v_mov_b32_e32 v115, v9
	v_mov_b32_e32 v114, v8
	;; [unrolled: 1-line block ×4, first 2 shown]
	s_barrier
	s_and_saveexec_b64 s[30:31], vcc
; %bb.29:
	v_add_f64 v[112:113], v[8:9], v[122:123]
	v_add_f64 v[110:111], v[6:7], v[120:121]
	v_mov_b32_e32 v115, v113
	v_mov_b32_e32 v114, v112
	;; [unrolled: 1-line block ×4, first 2 shown]
; %bb.30:
	s_or_b64 exec, exec, s[30:31]
	s_nop 0
	v_mov_b32_dpp v120, v116 row_shr:2 row_mask:0xf bank_mask:0xf
	v_mov_b32_dpp v121, v117 row_shr:2 row_mask:0xf bank_mask:0xf
	v_mov_b32_dpp v122, v114 row_shr:2 row_mask:0xf bank_mask:0xf
	v_mov_b32_dpp v123, v115 row_shr:2 row_mask:0xf bank_mask:0xf
	v_cmp_lt_u32_e32 vcc, 1, v124
	s_and_saveexec_b64 s[30:31], vcc
; %bb.31:
	v_add_f64 v[114:115], v[112:113], v[122:123]
	v_add_f64 v[116:117], v[110:111], v[120:121]
	v_mov_b64_e32 v[110:111], v[116:117]
	v_mov_b64_e32 v[112:113], v[114:115]
; %bb.32:
	s_or_b64 exec, exec, s[30:31]
	v_mov_b32_dpp v120, v116 row_shr:4 row_mask:0xf bank_mask:0xf
	v_mov_b32_dpp v121, v117 row_shr:4 row_mask:0xf bank_mask:0xf
	v_mov_b32_dpp v122, v114 row_shr:4 row_mask:0xf bank_mask:0xf
	v_mov_b32_dpp v123, v115 row_shr:4 row_mask:0xf bank_mask:0xf
	v_cmp_lt_u32_e32 vcc, 3, v124
	s_and_saveexec_b64 s[30:31], vcc
; %bb.33:
	v_add_f64 v[114:115], v[112:113], v[122:123]
	v_add_f64 v[116:117], v[110:111], v[120:121]
	v_mov_b64_e32 v[110:111], v[116:117]
	v_mov_b64_e32 v[112:113], v[114:115]
; %bb.34:
	s_or_b64 exec, exec, s[30:31]
	;; [unrolled: 13-line block ×3, first 2 shown]
	v_and_b32_e32 v124, 16, v119
	v_mov_b32_dpp v120, v116 row_bcast:15 row_mask:0xf bank_mask:0xf
	v_mov_b32_dpp v121, v117 row_bcast:15 row_mask:0xf bank_mask:0xf
	;; [unrolled: 1-line block ×4, first 2 shown]
	v_cmp_ne_u32_e32 vcc, 0, v124
	s_and_saveexec_b64 s[30:31], vcc
; %bb.37:
	v_add_f64 v[112:113], v[112:113], v[122:123]
	v_add_f64 v[110:111], v[110:111], v[120:121]
	v_mov_b32_e32 v115, v113
	v_mov_b32_e32 v114, v112
	;; [unrolled: 1-line block ×4, first 2 shown]
; %bb.38:
	s_or_b64 exec, exec, s[30:31]
	s_nop 0
	v_mov_b32_dpp v116, v116 row_bcast:31 row_mask:0xf bank_mask:0xf
	v_mov_b32_dpp v117, v117 row_bcast:31 row_mask:0xf bank_mask:0xf
	;; [unrolled: 1-line block ×4, first 2 shown]
	v_cmp_lt_u32_e32 vcc, 31, v119
	s_and_saveexec_b64 s[30:31], vcc
; %bb.39:
	v_add_f64 v[112:113], v[112:113], v[114:115]
	v_add_f64 v[110:111], v[110:111], v[116:117]
; %bb.40:
	s_or_b64 exec, exec, s[30:31]
	v_or_b32_e32 v114, 63, v0
	v_lshrrev_b32_e32 v124, 6, v0
	v_cmp_eq_u32_e32 vcc, v114, v0
	s_and_saveexec_b64 s[30:31], vcc
	s_cbranch_execz .LBB84_42
; %bb.41:
	v_lshlrev_b32_e32 v114, 4, v124
	ds_write_b128 v114, v[110:113]
.LBB84_42:
	s_or_b64 exec, exec, s[30:31]
	v_cmp_gt_u32_e32 vcc, 4, v0
	s_waitcnt lgkmcnt(0)
	s_barrier
	s_and_saveexec_b64 s[30:31], vcc
	s_cbranch_execz .LBB84_48
; %bb.43:
	ds_read_b128 v[114:117], v118
	v_and_b32_e32 v125, 3, v119
	v_cmp_ne_u32_e32 vcc, 0, v125
	s_waitcnt lgkmcnt(0)
	v_mov_b32_dpp v120, v114 row_shr:1 row_mask:0xf bank_mask:0xf
	v_mov_b32_dpp v121, v115 row_shr:1 row_mask:0xf bank_mask:0xf
	;; [unrolled: 1-line block ×4, first 2 shown]
	s_and_saveexec_b64 s[34:35], vcc
; %bb.44:
	v_add_f64 v[116:117], v[116:117], v[122:123]
	v_add_f64 v[114:115], v[114:115], v[120:121]
; %bb.45:
	s_or_b64 exec, exec, s[34:35]
	s_nop 0
	v_mov_b32_dpp v120, v114 row_shr:2 row_mask:0xf bank_mask:0xf
	v_mov_b32_dpp v121, v115 row_shr:2 row_mask:0xf bank_mask:0xf
	;; [unrolled: 1-line block ×4, first 2 shown]
	v_cmp_lt_u32_e32 vcc, 1, v125
	s_and_saveexec_b64 s[34:35], vcc
; %bb.46:
	v_add_f64 v[116:117], v[116:117], v[122:123]
	v_add_f64 v[114:115], v[114:115], v[120:121]
; %bb.47:
	s_or_b64 exec, exec, s[34:35]
	ds_write_b128 v118, v[114:117]
.LBB84_48:
	s_or_b64 exec, exec, s[30:31]
	v_mov_b64_e32 v[116:117], 0
	v_cmp_lt_u32_e32 vcc, 63, v0
	v_mov_b64_e32 v[114:115], v[116:117]
	s_waitcnt lgkmcnt(0)
	s_barrier
	s_and_saveexec_b64 s[30:31], vcc
	s_cbranch_execz .LBB84_50
; %bb.49:
	v_lshl_add_u32 v114, v124, 4, -16
	ds_read_b128 v[114:117], v114
	s_waitcnt lgkmcnt(0)
	v_add_f64 v[110:111], v[110:111], v[114:115]
	v_add_f64 v[112:113], v[112:113], v[116:117]
.LBB84_50:
	s_or_b64 exec, exec, s[30:31]
	v_add_u32_e32 v120, -1, v119
	v_and_b32_e32 v121, 64, v119
	v_cmp_lt_i32_e32 vcc, v120, v121
	s_nop 1
	v_cndmask_b32_e32 v120, v120, v119, vcc
	v_lshlrev_b32_e32 v120, 2, v120
	ds_bpermute_b32 v110, v120, v110
	ds_bpermute_b32 v111, v120, v111
	;; [unrolled: 1-line block ×4, first 2 shown]
	v_cmp_ne_u32_e32 vcc, 0, v0
	s_and_saveexec_b64 s[30:31], vcc
	s_cbranch_execz .LBB84_52
; %bb.51:
	v_cmp_eq_u32_e32 vcc, 0, v119
	s_waitcnt lgkmcnt(0)
	s_nop 0
	v_cndmask_b32_e32 v7, v113, v117, vcc
	v_cndmask_b32_e32 v6, v112, v116, vcc
	;; [unrolled: 1-line block ×4, first 2 shown]
	v_add_f64 v[2:3], v[2:3], v[8:9]
	v_add_f64 v[4:5], v[4:5], v[6:7]
	;; [unrolled: 1-line block ×28, first 2 shown]
.LBB84_52:
	s_or_b64 exec, exec, s[30:31]
	s_movk_i32 s30, 0xff30
	v_mad_i32_i24 v0, v0, s30, v1
	s_waitcnt lgkmcnt(0)
	s_barrier
	ds_write_b128 v1, v[2:5]
	ds_write_b128 v1, v[74:77] offset:16
	ds_write_b128 v1, v[66:69] offset:32
	ds_write_b128 v1, v[58:61] offset:48
	ds_write_b128 v1, v[54:57] offset:64
	ds_write_b128 v1, v[50:53] offset:80
	ds_write_b128 v1, v[46:49] offset:96
	ds_write_b128 v1, v[42:45] offset:112
	ds_write_b128 v1, v[38:41] offset:128
	ds_write_b128 v1, v[22:25] offset:144
	ds_write_b128 v1, v[18:21] offset:160
	ds_write_b128 v1, v[14:17] offset:176
	ds_write_b128 v1, v[10:13] offset:192
	ds_write_b128 v1, v[6:9] offset:208
	s_waitcnt lgkmcnt(0)
	s_barrier
	ds_read_b128 v[48:51], v0 offset:4096
	ds_read_b128 v[44:47], v0 offset:8192
	;; [unrolled: 1-line block ×13, first 2 shown]
	s_load_dwordx2 s[0:1], s[0:1], 0x20
	v_mov_b32_e32 v119, 0
	s_waitcnt lgkmcnt(0)
	v_lshl_add_u64 v[52:53], s[0:1], 0, v[118:119]
	s_and_saveexec_b64 s[0:1], s[14:15]
	s_cbranch_execnz .LBB84_67
; %bb.53:
	s_or_b64 exec, exec, s[0:1]
	s_and_saveexec_b64 s[0:1], s[2:3]
	s_cbranch_execnz .LBB84_68
.LBB84_54:
	s_or_b64 exec, exec, s[0:1]
	s_and_saveexec_b64 s[0:1], s[4:5]
	s_cbranch_execnz .LBB84_69
.LBB84_55:
	s_or_b64 exec, exec, s[0:1]
	s_and_saveexec_b64 s[0:1], s[6:7]
	s_cbranch_execnz .LBB84_70
.LBB84_56:
	s_or_b64 exec, exec, s[0:1]
	s_and_saveexec_b64 s[0:1], s[8:9]
	s_cbranch_execnz .LBB84_71
.LBB84_57:
	s_or_b64 exec, exec, s[0:1]
	s_and_saveexec_b64 s[0:1], s[10:11]
	s_cbranch_execnz .LBB84_72
.LBB84_58:
	s_or_b64 exec, exec, s[0:1]
	s_and_saveexec_b64 s[0:1], s[12:13]
	s_cbranch_execnz .LBB84_73
.LBB84_59:
	s_or_b64 exec, exec, s[0:1]
	s_and_saveexec_b64 s[0:1], s[16:17]
	s_cbranch_execnz .LBB84_74
.LBB84_60:
	s_or_b64 exec, exec, s[0:1]
	s_and_saveexec_b64 s[0:1], s[18:19]
	s_cbranch_execnz .LBB84_75
.LBB84_61:
	s_or_b64 exec, exec, s[0:1]
	s_and_saveexec_b64 s[0:1], s[20:21]
	s_cbranch_execnz .LBB84_76
.LBB84_62:
	s_or_b64 exec, exec, s[0:1]
	s_and_saveexec_b64 s[0:1], s[22:23]
	s_cbranch_execnz .LBB84_77
.LBB84_63:
	s_or_b64 exec, exec, s[0:1]
	s_and_saveexec_b64 s[0:1], s[24:25]
	s_cbranch_execnz .LBB84_78
.LBB84_64:
	s_or_b64 exec, exec, s[0:1]
	s_and_saveexec_b64 s[0:1], s[26:27]
	s_cbranch_execnz .LBB84_79
.LBB84_65:
	s_or_b64 exec, exec, s[0:1]
	s_and_saveexec_b64 s[0:1], s[28:29]
	s_cbranch_execnz .LBB84_80
.LBB84_66:
	s_endpgm
.LBB84_67:
	ds_read_b128 v[54:57], v118
	s_waitcnt lgkmcnt(0)
	global_store_dwordx4 v[52:53], v[54:57], off
	s_or_b64 exec, exec, s[0:1]
	s_and_saveexec_b64 s[0:1], s[2:3]
	s_cbranch_execz .LBB84_54
.LBB84_68:
	v_add_co_u32_e32 v54, vcc, 0x1000, v52
	s_nop 1
	v_addc_co_u32_e32 v55, vcc, 0, v53, vcc
	global_store_dwordx4 v[54:55], v[48:51], off
	s_or_b64 exec, exec, s[0:1]
	s_and_saveexec_b64 s[0:1], s[4:5]
	s_cbranch_execz .LBB84_55
.LBB84_69:
	v_add_co_u32_e32 v48, vcc, 0x2000, v52
	s_nop 1
	v_addc_co_u32_e32 v49, vcc, 0, v53, vcc
	global_store_dwordx4 v[48:49], v[44:47], off
	s_or_b64 exec, exec, s[0:1]
	s_and_saveexec_b64 s[0:1], s[6:7]
	s_cbranch_execz .LBB84_56
.LBB84_70:
	v_add_co_u32_e32 v44, vcc, 0x3000, v52
	s_nop 1
	v_addc_co_u32_e32 v45, vcc, 0, v53, vcc
	global_store_dwordx4 v[44:45], v[40:43], off
	s_or_b64 exec, exec, s[0:1]
	s_and_saveexec_b64 s[0:1], s[8:9]
	s_cbranch_execz .LBB84_57
.LBB84_71:
	v_add_co_u32_e32 v40, vcc, 0x4000, v52
	s_nop 1
	v_addc_co_u32_e32 v41, vcc, 0, v53, vcc
	global_store_dwordx4 v[40:41], v[36:39], off
	s_or_b64 exec, exec, s[0:1]
	s_and_saveexec_b64 s[0:1], s[10:11]
	s_cbranch_execz .LBB84_58
.LBB84_72:
	v_add_co_u32_e32 v36, vcc, 0x5000, v52
	s_nop 1
	v_addc_co_u32_e32 v37, vcc, 0, v53, vcc
	global_store_dwordx4 v[36:37], v[32:35], off
	s_or_b64 exec, exec, s[0:1]
	s_and_saveexec_b64 s[0:1], s[12:13]
	s_cbranch_execz .LBB84_59
.LBB84_73:
	v_add_co_u32_e32 v32, vcc, 0x6000, v52
	s_nop 1
	v_addc_co_u32_e32 v33, vcc, 0, v53, vcc
	global_store_dwordx4 v[32:33], v[28:31], off
	s_or_b64 exec, exec, s[0:1]
	s_and_saveexec_b64 s[0:1], s[16:17]
	s_cbranch_execz .LBB84_60
.LBB84_74:
	v_add_co_u32_e32 v28, vcc, 0x7000, v52
	s_nop 1
	v_addc_co_u32_e32 v29, vcc, 0, v53, vcc
	global_store_dwordx4 v[28:29], v[24:27], off
	s_or_b64 exec, exec, s[0:1]
	s_and_saveexec_b64 s[0:1], s[18:19]
	s_cbranch_execz .LBB84_61
.LBB84_75:
	v_add_co_u32_e32 v24, vcc, 0x8000, v52
	s_nop 1
	v_addc_co_u32_e32 v25, vcc, 0, v53, vcc
	global_store_dwordx4 v[24:25], v[20:23], off
	s_or_b64 exec, exec, s[0:1]
	s_and_saveexec_b64 s[0:1], s[20:21]
	s_cbranch_execz .LBB84_62
.LBB84_76:
	v_add_co_u32_e32 v20, vcc, 0x9000, v52
	s_nop 1
	v_addc_co_u32_e32 v21, vcc, 0, v53, vcc
	global_store_dwordx4 v[20:21], v[16:19], off
	s_or_b64 exec, exec, s[0:1]
	s_and_saveexec_b64 s[0:1], s[22:23]
	s_cbranch_execz .LBB84_63
.LBB84_77:
	v_add_co_u32_e32 v16, vcc, 0xa000, v52
	s_nop 1
	v_addc_co_u32_e32 v17, vcc, 0, v53, vcc
	global_store_dwordx4 v[16:17], v[12:15], off
	s_or_b64 exec, exec, s[0:1]
	s_and_saveexec_b64 s[0:1], s[24:25]
	s_cbranch_execz .LBB84_64
.LBB84_78:
	v_add_co_u32_e32 v12, vcc, 0xb000, v52
	s_nop 1
	v_addc_co_u32_e32 v13, vcc, 0, v53, vcc
	global_store_dwordx4 v[12:13], v[8:11], off
	s_or_b64 exec, exec, s[0:1]
	s_and_saveexec_b64 s[0:1], s[26:27]
	s_cbranch_execz .LBB84_65
.LBB84_79:
	v_add_co_u32_e32 v8, vcc, 0xc000, v52
	s_nop 1
	v_addc_co_u32_e32 v9, vcc, 0, v53, vcc
	global_store_dwordx4 v[8:9], v[4:7], off
	s_or_b64 exec, exec, s[0:1]
	s_and_saveexec_b64 s[0:1], s[28:29]
	s_cbranch_execz .LBB84_66
.LBB84_80:
	v_add_co_u32_e32 v4, vcc, 0xd000, v52
	s_nop 1
	v_addc_co_u32_e32 v5, vcc, 0, v53, vcc
	global_store_dwordx4 v[4:5], v[0:3], off
	s_endpgm
	.section	.rodata,"a",@progbits
	.p2align	6, 0x0
	.amdhsa_kernel _ZN7rocprim17ROCPRIM_304000_NS6detail18single_scan_kernelILb0ENS1_19wrapped_scan_configINS0_14default_configEN3c107complexIdEEEEPKS7_PS7_St4plusIS7_ES7_S7_EEvT1_mT4_T2_T3_
		.amdhsa_group_segment_fixed_size 57344
		.amdhsa_private_segment_fixed_size 0
		.amdhsa_kernarg_size 44
		.amdhsa_user_sgpr_count 2
		.amdhsa_user_sgpr_dispatch_ptr 0
		.amdhsa_user_sgpr_queue_ptr 0
		.amdhsa_user_sgpr_kernarg_segment_ptr 1
		.amdhsa_user_sgpr_dispatch_id 0
		.amdhsa_user_sgpr_kernarg_preload_length 0
		.amdhsa_user_sgpr_kernarg_preload_offset 0
		.amdhsa_user_sgpr_private_segment_size 0
		.amdhsa_uses_dynamic_stack 0
		.amdhsa_enable_private_segment 0
		.amdhsa_system_sgpr_workgroup_id_x 1
		.amdhsa_system_sgpr_workgroup_id_y 0
		.amdhsa_system_sgpr_workgroup_id_z 0
		.amdhsa_system_sgpr_workgroup_info 0
		.amdhsa_system_vgpr_workitem_id 0
		.amdhsa_next_free_vgpr 126
		.amdhsa_next_free_sgpr 40
		.amdhsa_accum_offset 128
		.amdhsa_reserve_vcc 1
		.amdhsa_float_round_mode_32 0
		.amdhsa_float_round_mode_16_64 0
		.amdhsa_float_denorm_mode_32 3
		.amdhsa_float_denorm_mode_16_64 3
		.amdhsa_dx10_clamp 1
		.amdhsa_ieee_mode 1
		.amdhsa_fp16_overflow 0
		.amdhsa_tg_split 0
		.amdhsa_exception_fp_ieee_invalid_op 0
		.amdhsa_exception_fp_denorm_src 0
		.amdhsa_exception_fp_ieee_div_zero 0
		.amdhsa_exception_fp_ieee_overflow 0
		.amdhsa_exception_fp_ieee_underflow 0
		.amdhsa_exception_fp_ieee_inexact 0
		.amdhsa_exception_int_div_zero 0
	.end_amdhsa_kernel
	.section	.text._ZN7rocprim17ROCPRIM_304000_NS6detail18single_scan_kernelILb0ENS1_19wrapped_scan_configINS0_14default_configEN3c107complexIdEEEEPKS7_PS7_St4plusIS7_ES7_S7_EEvT1_mT4_T2_T3_,"axG",@progbits,_ZN7rocprim17ROCPRIM_304000_NS6detail18single_scan_kernelILb0ENS1_19wrapped_scan_configINS0_14default_configEN3c107complexIdEEEEPKS7_PS7_St4plusIS7_ES7_S7_EEvT1_mT4_T2_T3_,comdat
.Lfunc_end84:
	.size	_ZN7rocprim17ROCPRIM_304000_NS6detail18single_scan_kernelILb0ENS1_19wrapped_scan_configINS0_14default_configEN3c107complexIdEEEEPKS7_PS7_St4plusIS7_ES7_S7_EEvT1_mT4_T2_T3_, .Lfunc_end84-_ZN7rocprim17ROCPRIM_304000_NS6detail18single_scan_kernelILb0ENS1_19wrapped_scan_configINS0_14default_configEN3c107complexIdEEEEPKS7_PS7_St4plusIS7_ES7_S7_EEvT1_mT4_T2_T3_
                                        ; -- End function
	.section	.AMDGPU.csdata,"",@progbits
; Kernel info:
; codeLenInByte = 3368
; NumSgprs: 46
; NumVgprs: 126
; NumAgprs: 0
; TotalNumVgprs: 126
; ScratchSize: 0
; MemoryBound: 1
; FloatMode: 240
; IeeeMode: 1
; LDSByteSize: 57344 bytes/workgroup (compile time only)
; SGPRBlocks: 5
; VGPRBlocks: 15
; NumSGPRsForWavesPerEU: 46
; NumVGPRsForWavesPerEU: 126
; AccumOffset: 128
; Occupancy: 1
; WaveLimiterHint : 0
; COMPUTE_PGM_RSRC2:SCRATCH_EN: 0
; COMPUTE_PGM_RSRC2:USER_SGPR: 2
; COMPUTE_PGM_RSRC2:TRAP_HANDLER: 0
; COMPUTE_PGM_RSRC2:TGID_X_EN: 1
; COMPUTE_PGM_RSRC2:TGID_Y_EN: 0
; COMPUTE_PGM_RSRC2:TGID_Z_EN: 0
; COMPUTE_PGM_RSRC2:TIDIG_COMP_CNT: 0
; COMPUTE_PGM_RSRC3_GFX90A:ACCUM_OFFSET: 31
; COMPUTE_PGM_RSRC3_GFX90A:TG_SPLIT: 0
	.section	.text._ZN2at6native32tensor_kernel_scan_innermost_dimIN3c107complexIdEESt4plusIS4_EEEvPT_PKS7_jjjS7_T0_,"axG",@progbits,_ZN2at6native32tensor_kernel_scan_innermost_dimIN3c107complexIdEESt4plusIS4_EEEvPT_PKS7_jjjS7_T0_,comdat
	.protected	_ZN2at6native32tensor_kernel_scan_innermost_dimIN3c107complexIdEESt4plusIS4_EEEvPT_PKS7_jjjS7_T0_ ; -- Begin function _ZN2at6native32tensor_kernel_scan_innermost_dimIN3c107complexIdEESt4plusIS4_EEEvPT_PKS7_jjjS7_T0_
	.globl	_ZN2at6native32tensor_kernel_scan_innermost_dimIN3c107complexIdEESt4plusIS4_EEEvPT_PKS7_jjjS7_T0_
	.p2align	8
	.type	_ZN2at6native32tensor_kernel_scan_innermost_dimIN3c107complexIdEESt4plusIS4_EEEvPT_PKS7_jjjS7_T0_,@function
_ZN2at6native32tensor_kernel_scan_innermost_dimIN3c107complexIdEESt4plusIS4_EEEvPT_PKS7_jjjS7_T0_: ; @_ZN2at6native32tensor_kernel_scan_innermost_dimIN3c107complexIdEESt4plusIS4_EEEvPT_PKS7_jjjS7_T0_
; %bb.0:
	s_load_dwordx8 s[12:19], s[0:1], 0x0
	s_load_dwordx4 s[20:23], s[0:1], 0x20
	v_bfe_u32 v6, v0, 10, 10
	s_waitcnt lgkmcnt(0)
	s_lshl_b32 s3, 2, s18
	v_mul_lo_u32 v1, s3, v6
	s_mul_hi_u32 s4, s16, s17
	s_mov_b32 s24, s16
	v_lshl_add_u32 v16, v1, 4, 0
	s_cmp_lg_u32 s4, 0
	s_mov_b64 s[4:5], -1
	s_cbranch_scc1 .LBB85_30
; %bb.1:
	s_load_dword s6, s[0:1], 0x44
	s_add_u32 s4, s0, 56
	s_addc_u32 s5, s1, 0
	s_waitcnt lgkmcnt(0)
	s_lshr_b32 s6, s6, 16
	s_mul_i32 s19, s2, s6
	s_cmp_ge_u32 s19, s16
	s_cbranch_scc1 .LBB85_29
; %bb.2:
	s_load_dword s30, s[4:5], 0x0
	s_lshl_b32 s25, 1, s18
	s_cmp_lg_u32 s17, 0
	v_and_b32_e32 v1, 0x3ff, v0
	s_cselect_b64 s[4:5], -1, 0
	v_lshl_add_u32 v7, v1, 4, v16
	s_lshl_b32 s7, s3, 4
	v_cndmask_b32_e64 v2, 0, 1, s[4:5]
	v_lshl_add_u32 v17, s25, 4, v7
	v_cmp_eq_u32_e64 s[8:9], 0, v1
	v_add3_u32 v18, v16, s7, -16
	s_waitcnt lgkmcnt(0)
	s_mul_i32 s30, s30, s6
	s_add_i32 s31, s18, 1
	v_cmp_ne_u32_e64 s[4:5], 1, v2
	v_mov_b32_e32 v9, 0
	s_branch .LBB85_4
.LBB85_3:                               ;   in Loop: Header=BB85_4 Depth=1
	s_add_i32 s19, s19, s30
	s_cmp_ge_u32 s19, s16
	s_cbranch_scc1 .LBB85_29
.LBB85_4:                               ; =>This Loop Header: Depth=1
                                        ;     Child Loop BB85_7 Depth 2
                                        ;       Child Loop BB85_18 Depth 3
	s_and_b64 vcc, exec, s[4:5]
	s_cbranch_vccnz .LBB85_3
; %bb.5:                                ;   in Loop: Header=BB85_4 Depth=1
	v_add_u32_e32 v4, s19, v6
	v_mul_lo_u32 v8, v4, s17
	v_lshlrev_b64 v[2:3], 4, v[8:9]
	v_lshl_add_u64 v[10:11], s[14:15], 0, v[2:3]
	v_lshl_add_u64 v[12:13], s[12:13], 0, v[2:3]
	v_cmp_gt_u32_e32 vcc, s16, v4
	v_cmp_le_u32_e64 s[6:7], s16, v4
	s_mov_b32 s33, 0
	v_mov_b64_e32 v[2:3], s[20:21]
	v_mov_b64_e32 v[4:5], s[22:23]
	s_branch .LBB85_7
.LBB85_6:                               ;   in Loop: Header=BB85_7 Depth=2
	s_or_b64 exec, exec, s[26:27]
	ds_read_b128 v[2:5], v18
	s_add_i32 s33, s33, s3
	s_cmp_ge_u32 s33, s17
	s_waitcnt lgkmcnt(0)
	s_barrier
	s_cbranch_scc1 .LBB85_3
.LBB85_7:                               ;   Parent Loop BB85_4 Depth=1
                                        ; =>  This Loop Header: Depth=2
                                        ;       Child Loop BB85_18 Depth 3
	v_add_u32_e32 v8, s33, v1
	v_add_u32_e32 v14, s25, v8
	s_and_saveexec_b64 s[26:27], vcc
	s_cbranch_execz .LBB85_16
; %bb.8:                                ;   in Loop: Header=BB85_7 Depth=2
	v_cmp_le_u32_e64 s[10:11], s17, v8
	s_and_saveexec_b64 s[28:29], s[10:11]
	s_xor_b64 s[10:11], exec, s[28:29]
	s_cbranch_execz .LBB85_10
; %bb.9:                                ;   in Loop: Header=BB85_7 Depth=2
	v_mov_b32_e32 v20, s20
	v_mov_b32_e32 v21, s21
	;; [unrolled: 1-line block ×4, first 2 shown]
	ds_write_b128 v7, v[20:23]
.LBB85_10:                              ;   in Loop: Header=BB85_7 Depth=2
	s_andn2_saveexec_b64 s[10:11], s[10:11]
	s_cbranch_execz .LBB85_12
; %bb.11:                               ;   in Loop: Header=BB85_7 Depth=2
	v_lshl_add_u64 v[20:21], v[8:9], 4, v[10:11]
	global_load_dwordx4 v[20:23], v[20:21], off
	s_waitcnt vmcnt(0)
	ds_write_b128 v7, v[20:23]
.LBB85_12:                              ;   in Loop: Header=BB85_7 Depth=2
	s_or_b64 exec, exec, s[10:11]
	v_cmp_le_u32_e64 s[10:11], s17, v14
	s_and_saveexec_b64 s[28:29], s[10:11]
	s_xor_b64 s[10:11], exec, s[28:29]
	s_cbranch_execnz .LBB85_27
; %bb.13:                               ;   in Loop: Header=BB85_7 Depth=2
	s_andn2_saveexec_b64 s[10:11], s[10:11]
	s_cbranch_execnz .LBB85_28
.LBB85_14:                              ;   in Loop: Header=BB85_7 Depth=2
	s_or_b64 exec, exec, s[10:11]
	s_and_b64 exec, exec, s[8:9]
	s_cbranch_execz .LBB85_16
.LBB85_15:                              ;   in Loop: Header=BB85_7 Depth=2
	ds_read_b128 v[20:23], v16
	s_waitcnt lgkmcnt(0)
	v_add_f64 v[2:3], v[2:3], v[20:21]
	v_add_f64 v[4:5], v[4:5], v[22:23]
	ds_write_b128 v16, v[2:5]
.LBB85_16:                              ;   in Loop: Header=BB85_7 Depth=2
	s_or_b64 exec, exec, s[26:27]
	s_mov_b64 s[26:27], 0
	v_mov_b32_e32 v3, 0
	s_waitcnt lgkmcnt(0)
	s_barrier
	s_branch .LBB85_18
.LBB85_17:                              ;   in Loop: Header=BB85_18 Depth=3
	s_or_b64 exec, exec, s[10:11]
	v_cmp_eq_u32_e64 s[10:11], s31, v3
	s_or_b64 s[26:27], s[10:11], s[26:27]
	s_waitcnt lgkmcnt(0)
	s_barrier
	s_andn2_b64 exec, exec, s[26:27]
	s_cbranch_execz .LBB85_22
.LBB85_18:                              ;   Parent Loop BB85_4 Depth=1
                                        ;     Parent Loop BB85_7 Depth=2
                                        ; =>    This Inner Loop Header: Depth=3
	v_add_u32_e32 v2, 1, v3
	s_and_saveexec_b64 s[10:11], s[6:7]
	s_xor_b64 s[10:11], exec, s[10:11]
; %bb.19:                               ;   in Loop: Header=BB85_18 Depth=3
	v_add_u32_e32 v3, 1, v3
                                        ; implicit-def: $vgpr2
; %bb.20:                               ;   in Loop: Header=BB85_18 Depth=3
	s_andn2_saveexec_b64 s[10:11], s[10:11]
	s_cbranch_execz .LBB85_17
; %bb.21:                               ;   in Loop: Header=BB85_18 Depth=3
	v_lshlrev_b32_e64 v4, v3, 1
	v_lshrrev_b32_e32 v5, v3, v1
	v_lshl_or_b32 v4, v5, v2, v4
	v_bfm_b32 v3, v3, 0
	v_and_b32_e32 v3, v3, v1
	v_lshl_add_u32 v4, v4, 4, v16
	v_lshl_add_u32 v3, v3, 4, v4
	v_add_u32_e32 v4, -16, v4
	ds_read_b128 v[20:23], v3
	ds_read_b128 v[24:27], v4
	s_waitcnt lgkmcnt(0)
	v_add_f64 v[20:21], v[20:21], v[24:25]
	v_add_f64 v[22:23], v[22:23], v[26:27]
	ds_write_b128 v3, v[20:23]
	v_mov_b32_e32 v3, v2
	s_branch .LBB85_17
.LBB85_22:                              ;   in Loop: Header=BB85_7 Depth=2
	s_or_b64 exec, exec, s[26:27]
	s_and_saveexec_b64 s[26:27], vcc
	s_cbranch_execz .LBB85_6
; %bb.23:                               ;   in Loop: Header=BB85_7 Depth=2
	v_cmp_gt_u32_e64 s[10:11], s17, v8
	s_and_saveexec_b64 s[28:29], s[10:11]
	s_cbranch_execz .LBB85_25
; %bb.24:                               ;   in Loop: Header=BB85_7 Depth=2
	ds_read_b128 v[2:5], v7
	v_lshl_add_u64 v[20:21], v[8:9], 4, v[12:13]
	s_waitcnt lgkmcnt(0)
	global_store_dwordx4 v[20:21], v[2:5], off
.LBB85_25:                              ;   in Loop: Header=BB85_7 Depth=2
	s_or_b64 exec, exec, s[28:29]
	v_cmp_gt_u32_e64 s[10:11], s17, v14
	s_and_b64 exec, exec, s[10:11]
	s_cbranch_execz .LBB85_6
; %bb.26:                               ;   in Loop: Header=BB85_7 Depth=2
	ds_read_b128 v[2:5], v17
	v_mov_b32_e32 v15, v9
	v_lshl_add_u64 v[14:15], v[14:15], 4, v[12:13]
	s_waitcnt lgkmcnt(0)
	global_store_dwordx4 v[14:15], v[2:5], off
	s_branch .LBB85_6
.LBB85_27:                              ;   in Loop: Header=BB85_7 Depth=2
	v_mov_b32_e32 v20, s20
	v_mov_b32_e32 v21, s21
	;; [unrolled: 1-line block ×4, first 2 shown]
	ds_write_b128 v17, v[20:23]
	s_andn2_saveexec_b64 s[10:11], s[10:11]
	s_cbranch_execz .LBB85_14
.LBB85_28:                              ;   in Loop: Header=BB85_7 Depth=2
	v_mov_b32_e32 v15, v9
	v_lshl_add_u64 v[20:21], v[14:15], 4, v[10:11]
	global_load_dwordx4 v[20:23], v[20:21], off
	s_waitcnt vmcnt(0)
	ds_write_b128 v17, v[20:23]
	s_or_b64 exec, exec, s[10:11]
	s_and_b64 exec, exec, s[8:9]
	s_cbranch_execnz .LBB85_15
	s_branch .LBB85_16
.LBB85_29:
	s_mov_b64 s[4:5], 0
.LBB85_30:
	s_andn2_b64 vcc, exec, s[4:5]
	s_cbranch_vccnz .LBB85_61
; %bb.31:
	s_load_dword s3, s[0:1], 0x44
	s_add_u32 s4, s0, 56
	s_mov_b32 s25, 0
	s_addc_u32 s5, s1, 0
	v_mov_b64_e32 v[2:3], s[24:25]
	s_waitcnt lgkmcnt(0)
	s_lshr_b32 s0, s3, 16
	s_mul_hi_u32 s9, s0, s2
	s_mul_i32 s8, s0, s2
	v_cmp_ge_u64_e32 vcc, s[8:9], v[2:3]
	s_cbranch_vccnz .LBB85_61
; %bb.32:
	s_lshl_b32 s10, 1, s18
	s_load_dword s4, s[4:5], 0x0
	s_and_b32 s6, 0xffff, s0
	s_ashr_i32 s11, s10, 31
	s_cmp_lg_u32 s17, 0
	s_mov_b32 s26, s17
	v_and_b32_e32 v4, 0x3ff, v0
	s_cselect_b64 s[2:3], -1, 0
	s_lshl_b64 s[16:17], s[10:11], 1
	v_mov_b32_e32 v7, 0
	v_lshl_add_u32 v17, v4, 4, v16
	s_lshl_b32 s5, s16, 4
	v_cndmask_b32_e64 v0, 0, 1, s[2:3]
	s_mov_b32 s27, s25
	v_mov_b32_e32 v5, v7
	v_lshl_add_u32 v18, s10, 4, v17
	v_cmp_eq_u32_e64 s[0:1], 0, v4
	v_add3_u32 v19, v16, s5, -16
	s_waitcnt lgkmcnt(0)
	s_mul_i32 s33, s4, s6
	s_add_i32 s36, s18, 1
	v_cmp_ne_u32_e64 s[2:3], 1, v0
	s_branch .LBB85_34
.LBB85_33:                              ;   in Loop: Header=BB85_34 Depth=1
	s_add_u32 s8, s8, s33
	s_addc_u32 s9, s9, 0
	v_mov_b64_e32 v[0:1], s[24:25]
	v_cmp_ge_u64_e32 vcc, s[8:9], v[0:1]
	s_cbranch_vccnz .LBB85_61
.LBB85_34:                              ; =>This Loop Header: Depth=1
                                        ;     Child Loop BB85_37 Depth 2
                                        ;       Child Loop BB85_49 Depth 3
	s_and_b64 vcc, exec, s[2:3]
	s_cbranch_vccnz .LBB85_33
; %bb.35:                               ;   in Loop: Header=BB85_34 Depth=1
	v_lshl_add_u64 v[0:1], s[8:9], 0, v[6:7]
	v_mad_u64_u32 v[2:3], s[4:5], v0, s26, 0
	v_mov_b32_e32 v8, v3
	v_mad_u64_u32 v[8:9], s[4:5], v1, s26, v[8:9]
	v_mov_b32_e32 v3, v8
	v_lshlrev_b64 v[2:3], 4, v[2:3]
	v_lshl_add_u64 v[8:9], s[14:15], 0, v[2:3]
	v_lshl_add_u64 v[10:11], s[12:13], 0, v[2:3]
	v_cmp_gt_u64_e64 s[4:5], s[24:25], v[0:1]
	v_cmp_le_u64_e64 s[6:7], s[24:25], v[0:1]
	s_mov_b64 s[18:19], 0
	v_mov_b64_e32 v[0:1], s[20:21]
	v_mov_b64_e32 v[2:3], s[22:23]
	s_branch .LBB85_37
.LBB85_36:                              ;   in Loop: Header=BB85_37 Depth=2
	s_or_b64 exec, exec, s[28:29]
	ds_read_b128 v[0:3], v19
	s_add_u32 s18, s18, s16
	s_addc_u32 s19, s19, s17
	v_mov_b64_e32 v[12:13], s[26:27]
	v_cmp_ge_u64_e32 vcc, s[18:19], v[12:13]
	s_waitcnt lgkmcnt(0)
	s_barrier
	s_cbranch_vccnz .LBB85_33
.LBB85_37:                              ;   Parent Loop BB85_34 Depth=1
                                        ; =>  This Loop Header: Depth=2
                                        ;       Child Loop BB85_49 Depth 3
	v_lshl_add_u64 v[14:15], s[18:19], 0, v[4:5]
	v_lshl_add_u64 v[12:13], v[14:15], 0, s[10:11]
	s_and_saveexec_b64 s[28:29], s[4:5]
	s_cbranch_execz .LBB85_46
; %bb.38:                               ;   in Loop: Header=BB85_37 Depth=2
	v_cmp_le_u64_e32 vcc, s[26:27], v[14:15]
	s_and_saveexec_b64 s[30:31], vcc
	s_xor_b64 s[30:31], exec, s[30:31]
	s_cbranch_execz .LBB85_40
; %bb.39:                               ;   in Loop: Header=BB85_37 Depth=2
	v_mov_b32_e32 v20, s20
	v_mov_b32_e32 v21, s21
	;; [unrolled: 1-line block ×4, first 2 shown]
	ds_write_b128 v17, v[20:23]
.LBB85_40:                              ;   in Loop: Header=BB85_37 Depth=2
	s_andn2_saveexec_b64 s[30:31], s[30:31]
	s_cbranch_execz .LBB85_42
; %bb.41:                               ;   in Loop: Header=BB85_37 Depth=2
	v_lshl_add_u64 v[20:21], v[14:15], 4, v[8:9]
	global_load_dwordx4 v[20:23], v[20:21], off
	s_waitcnt vmcnt(0)
	ds_write_b128 v17, v[20:23]
.LBB85_42:                              ;   in Loop: Header=BB85_37 Depth=2
	s_or_b64 exec, exec, s[30:31]
	v_cmp_le_u64_e32 vcc, s[26:27], v[12:13]
	s_and_saveexec_b64 s[30:31], vcc
	s_xor_b64 s[30:31], exec, s[30:31]
	s_cbranch_execnz .LBB85_59
; %bb.43:                               ;   in Loop: Header=BB85_37 Depth=2
	s_andn2_saveexec_b64 s[30:31], s[30:31]
	s_cbranch_execnz .LBB85_60
.LBB85_44:                              ;   in Loop: Header=BB85_37 Depth=2
	s_or_b64 exec, exec, s[30:31]
	s_and_b64 exec, exec, s[0:1]
	s_cbranch_execz .LBB85_46
.LBB85_45:                              ;   in Loop: Header=BB85_37 Depth=2
	ds_read_b128 v[20:23], v16
	s_waitcnt lgkmcnt(0)
	v_add_f64 v[0:1], v[0:1], v[20:21]
	v_add_f64 v[2:3], v[2:3], v[22:23]
	ds_write_b128 v16, v[0:3]
.LBB85_46:                              ;   in Loop: Header=BB85_37 Depth=2
	s_or_b64 exec, exec, s[28:29]
	s_mov_b64 s[28:29], 0
	v_mov_b32_e32 v21, 0
	s_waitcnt lgkmcnt(0)
	s_barrier
	s_branch .LBB85_49
.LBB85_47:                              ;   in Loop: Header=BB85_49 Depth=3
	s_or_b64 exec, exec, s[34:35]
	v_lshrrev_b32_e32 v1, v21, v4
	v_lshl_or_b32 v0, v1, v20, v0
	v_lshl_add_u32 v0, v0, 4, v16
	v_lshl_add_u32 v21, v2, 4, v0
	v_add_u32_e32 v22, -16, v0
	ds_read_b128 v[0:3], v21
	ds_read_b128 v[22:25], v22
	s_waitcnt lgkmcnt(0)
	v_add_f64 v[0:1], v[0:1], v[22:23]
	v_add_f64 v[2:3], v[2:3], v[24:25]
	ds_write_b128 v21, v[0:3]
.LBB85_48:                              ;   in Loop: Header=BB85_49 Depth=3
	s_or_b64 exec, exec, s[30:31]
	v_cmp_eq_u32_e32 vcc, s36, v20
	s_or_b64 s[28:29], vcc, s[28:29]
	v_mov_b32_e32 v21, v20
	s_waitcnt lgkmcnt(0)
	s_barrier
	s_andn2_b64 exec, exec, s[28:29]
	s_cbranch_execz .LBB85_54
.LBB85_49:                              ;   Parent Loop BB85_34 Depth=1
                                        ;     Parent Loop BB85_37 Depth=2
                                        ; =>    This Inner Loop Header: Depth=3
	v_add_u32_e32 v20, 1, v21
	s_and_saveexec_b64 s[30:31], s[6:7]
	s_xor_b64 s[30:31], exec, s[30:31]
; %bb.50:                               ;   in Loop: Header=BB85_49 Depth=3
	v_add_u32_e32 v20, 1, v21
                                        ; implicit-def: $vgpr21
; %bb.51:                               ;   in Loop: Header=BB85_49 Depth=3
	s_andn2_saveexec_b64 s[30:31], s[30:31]
	s_cbranch_execz .LBB85_48
; %bb.52:                               ;   in Loop: Header=BB85_49 Depth=3
	v_lshlrev_b32_e64 v0, v21, 1
	v_ashrrev_i32_e32 v1, 31, v0
	v_cmp_ge_u64_e32 vcc, v[4:5], v[0:1]
	v_mov_b64_e32 v[2:3], v[4:5]
	s_and_saveexec_b64 s[34:35], vcc
	s_cbranch_execz .LBB85_47
; %bb.53:                               ;   in Loop: Header=BB85_49 Depth=3
	v_cvt_f32_u32_e32 v1, v0
	v_sub_u32_e32 v2, 0, v0
	v_rcp_iflag_f32_e32 v1, v1
	s_nop 0
	v_mul_f32_e32 v1, 0x4f7ffffe, v1
	v_cvt_u32_f32_e32 v1, v1
	v_mul_lo_u32 v2, v2, v1
	v_mul_hi_u32 v2, v1, v2
	v_add_u32_e32 v1, v1, v2
	v_mul_hi_u32 v1, v4, v1
	v_mul_lo_u32 v1, v1, v0
	v_sub_u32_e32 v1, v4, v1
	v_sub_u32_e32 v2, v1, v0
	v_cmp_ge_u32_e32 vcc, v1, v0
	s_nop 1
	v_cndmask_b32_e32 v1, v1, v2, vcc
	v_sub_u32_e32 v2, v1, v0
	v_cmp_ge_u32_e32 vcc, v1, v0
	s_nop 1
	v_cndmask_b32_e32 v2, v1, v2, vcc
	s_branch .LBB85_47
.LBB85_54:                              ;   in Loop: Header=BB85_37 Depth=2
	s_or_b64 exec, exec, s[28:29]
	s_and_saveexec_b64 s[28:29], s[4:5]
	s_cbranch_execz .LBB85_36
; %bb.55:                               ;   in Loop: Header=BB85_37 Depth=2
	v_cmp_gt_u64_e32 vcc, s[26:27], v[14:15]
	s_and_saveexec_b64 s[30:31], vcc
	s_cbranch_execz .LBB85_57
; %bb.56:                               ;   in Loop: Header=BB85_37 Depth=2
	ds_read_b128 v[0:3], v17
	v_lshl_add_u64 v[14:15], v[14:15], 4, v[10:11]
	s_waitcnt lgkmcnt(0)
	global_store_dwordx4 v[14:15], v[0:3], off
.LBB85_57:                              ;   in Loop: Header=BB85_37 Depth=2
	s_or_b64 exec, exec, s[30:31]
	v_cmp_gt_u64_e32 vcc, s[26:27], v[12:13]
	s_and_b64 exec, exec, vcc
	s_cbranch_execz .LBB85_36
; %bb.58:                               ;   in Loop: Header=BB85_37 Depth=2
	ds_read_b128 v[0:3], v18
	v_lshl_add_u64 v[12:13], v[12:13], 4, v[10:11]
	s_waitcnt lgkmcnt(0)
	global_store_dwordx4 v[12:13], v[0:3], off
	s_branch .LBB85_36
.LBB85_59:                              ;   in Loop: Header=BB85_37 Depth=2
	v_mov_b32_e32 v20, s20
	v_mov_b32_e32 v21, s21
	;; [unrolled: 1-line block ×4, first 2 shown]
	ds_write_b128 v18, v[20:23]
	s_andn2_saveexec_b64 s[30:31], s[30:31]
	s_cbranch_execz .LBB85_44
.LBB85_60:                              ;   in Loop: Header=BB85_37 Depth=2
	v_lshl_add_u64 v[20:21], v[12:13], 4, v[8:9]
	global_load_dwordx4 v[20:23], v[20:21], off
	s_waitcnt vmcnt(0)
	ds_write_b128 v18, v[20:23]
	s_or_b64 exec, exec, s[30:31]
	s_and_b64 exec, exec, s[0:1]
	s_cbranch_execnz .LBB85_45
	s_branch .LBB85_46
.LBB85_61:
	s_endpgm
	.section	.rodata,"a",@progbits
	.p2align	6, 0x0
	.amdhsa_kernel _ZN2at6native32tensor_kernel_scan_innermost_dimIN3c107complexIdEESt4plusIS4_EEEvPT_PKS7_jjjS7_T0_
		.amdhsa_group_segment_fixed_size 0
		.amdhsa_private_segment_fixed_size 0
		.amdhsa_kernarg_size 312
		.amdhsa_user_sgpr_count 2
		.amdhsa_user_sgpr_dispatch_ptr 0
		.amdhsa_user_sgpr_queue_ptr 0
		.amdhsa_user_sgpr_kernarg_segment_ptr 1
		.amdhsa_user_sgpr_dispatch_id 0
		.amdhsa_user_sgpr_kernarg_preload_length 0
		.amdhsa_user_sgpr_kernarg_preload_offset 0
		.amdhsa_user_sgpr_private_segment_size 0
		.amdhsa_uses_dynamic_stack 0
		.amdhsa_enable_private_segment 0
		.amdhsa_system_sgpr_workgroup_id_x 1
		.amdhsa_system_sgpr_workgroup_id_y 0
		.amdhsa_system_sgpr_workgroup_id_z 0
		.amdhsa_system_sgpr_workgroup_info 0
		.amdhsa_system_vgpr_workitem_id 1
		.amdhsa_next_free_vgpr 28
		.amdhsa_next_free_sgpr 37
		.amdhsa_accum_offset 28
		.amdhsa_reserve_vcc 1
		.amdhsa_float_round_mode_32 0
		.amdhsa_float_round_mode_16_64 0
		.amdhsa_float_denorm_mode_32 3
		.amdhsa_float_denorm_mode_16_64 3
		.amdhsa_dx10_clamp 1
		.amdhsa_ieee_mode 1
		.amdhsa_fp16_overflow 0
		.amdhsa_tg_split 0
		.amdhsa_exception_fp_ieee_invalid_op 0
		.amdhsa_exception_fp_denorm_src 0
		.amdhsa_exception_fp_ieee_div_zero 0
		.amdhsa_exception_fp_ieee_overflow 0
		.amdhsa_exception_fp_ieee_underflow 0
		.amdhsa_exception_fp_ieee_inexact 0
		.amdhsa_exception_int_div_zero 0
	.end_amdhsa_kernel
	.section	.text._ZN2at6native32tensor_kernel_scan_innermost_dimIN3c107complexIdEESt4plusIS4_EEEvPT_PKS7_jjjS7_T0_,"axG",@progbits,_ZN2at6native32tensor_kernel_scan_innermost_dimIN3c107complexIdEESt4plusIS4_EEEvPT_PKS7_jjjS7_T0_,comdat
.Lfunc_end85:
	.size	_ZN2at6native32tensor_kernel_scan_innermost_dimIN3c107complexIdEESt4plusIS4_EEEvPT_PKS7_jjjS7_T0_, .Lfunc_end85-_ZN2at6native32tensor_kernel_scan_innermost_dimIN3c107complexIdEESt4plusIS4_EEEvPT_PKS7_jjjS7_T0_
                                        ; -- End function
	.section	.AMDGPU.csdata,"",@progbits
; Kernel info:
; codeLenInByte = 1864
; NumSgprs: 43
; NumVgprs: 28
; NumAgprs: 0
; TotalNumVgprs: 28
; ScratchSize: 0
; MemoryBound: 0
; FloatMode: 240
; IeeeMode: 1
; LDSByteSize: 0 bytes/workgroup (compile time only)
; SGPRBlocks: 5
; VGPRBlocks: 3
; NumSGPRsForWavesPerEU: 43
; NumVGPRsForWavesPerEU: 28
; AccumOffset: 28
; Occupancy: 8
; WaveLimiterHint : 0
; COMPUTE_PGM_RSRC2:SCRATCH_EN: 0
; COMPUTE_PGM_RSRC2:USER_SGPR: 2
; COMPUTE_PGM_RSRC2:TRAP_HANDLER: 0
; COMPUTE_PGM_RSRC2:TGID_X_EN: 1
; COMPUTE_PGM_RSRC2:TGID_Y_EN: 0
; COMPUTE_PGM_RSRC2:TGID_Z_EN: 0
; COMPUTE_PGM_RSRC2:TIDIG_COMP_CNT: 1
; COMPUTE_PGM_RSRC3_GFX90A:ACCUM_OFFSET: 6
; COMPUTE_PGM_RSRC3_GFX90A:TG_SPLIT: 0
	.section	.text._ZN2at6native28tensor_kernel_scan_outer_dimIN3c107complexIdEEjSt4plusIS4_EEEvPT_PKS7_jjjS7_T1_,"axG",@progbits,_ZN2at6native28tensor_kernel_scan_outer_dimIN3c107complexIdEEjSt4plusIS4_EEEvPT_PKS7_jjjS7_T1_,comdat
	.protected	_ZN2at6native28tensor_kernel_scan_outer_dimIN3c107complexIdEEjSt4plusIS4_EEEvPT_PKS7_jjjS7_T1_ ; -- Begin function _ZN2at6native28tensor_kernel_scan_outer_dimIN3c107complexIdEEjSt4plusIS4_EEEvPT_PKS7_jjjS7_T1_
	.globl	_ZN2at6native28tensor_kernel_scan_outer_dimIN3c107complexIdEEjSt4plusIS4_EEEvPT_PKS7_jjjS7_T1_
	.p2align	8
	.type	_ZN2at6native28tensor_kernel_scan_outer_dimIN3c107complexIdEEjSt4plusIS4_EEEvPT_PKS7_jjjS7_T1_,@function
_ZN2at6native28tensor_kernel_scan_outer_dimIN3c107complexIdEEjSt4plusIS4_EEEvPT_PKS7_jjjS7_T1_: ; @_ZN2at6native28tensor_kernel_scan_outer_dimIN3c107complexIdEEjSt4plusIS4_EEEvPT_PKS7_jjjS7_T1_
; %bb.0:
	s_load_dwordx4 s[8:11], s[0:1], 0x10
	s_waitcnt lgkmcnt(0)
	s_cmp_ge_u32 s2, s8
	s_cbranch_scc1 .LBB86_9
; %bb.1:
	s_load_dword s11, s[0:1], 0x38
	s_load_dword s4, s[0:1], 0x44
	s_load_dwordx4 s[12:15], s[0:1], 0x0
	s_load_dwordx4 s[16:19], s[0:1], 0x20
	s_add_u32 s6, s0, 56
	s_addc_u32 s7, s1, 0
	s_waitcnt lgkmcnt(0)
	s_and_b32 s30, s4, 0xffff
	s_mul_i32 s3, s3, s30
	s_cmp_lg_u32 s10, 0
	v_add_u32_e32 v8, s3, v0
	s_mul_i32 s3, s2, s10
	s_cselect_b64 s[4:5], -1, 0
	s_mov_b32 s21, 0
	s_mov_b32 s20, s9
	s_mul_i32 s24, s3, s9
	s_mul_i32 s3, s11, s10
	v_cndmask_b32_e64 v0, 0, 1, s[4:5]
	v_cmp_gt_u32_e64 s[0:1], s9, v8
	s_mul_i32 s3, s3, s9
	s_lshl_b64 s[22:23], s[20:21], 4
	v_cmp_ne_u32_e64 s[4:5], 1, v0
	v_mov_b32_e32 v5, 0
	s_mov_b32 s20, s24
	s_branch .LBB86_3
.LBB86_2:                               ;   in Loop: Header=BB86_3 Depth=1
	s_or_b64 exec, exec, s[24:25]
	s_add_i32 s2, s11, s2
	s_add_i32 s20, s20, s3
	s_cmp_ge_u32 s2, s8
	s_cbranch_scc1 .LBB86_9
.LBB86_3:                               ; =>This Loop Header: Depth=1
                                        ;     Child Loop BB86_6 Depth 2
                                        ;       Child Loop BB86_8 Depth 3
	s_and_saveexec_b64 s[24:25], s[0:1]
	s_cbranch_execz .LBB86_2
; %bb.4:                                ;   in Loop: Header=BB86_3 Depth=1
	s_load_dword s31, s[6:7], 0x4
	s_lshl_b64 s[26:27], s[20:21], 4
	s_mov_b64 s[28:29], 0
	s_or_b32 s26, s26, 8
	v_mov_b32_e32 v4, v8
	s_waitcnt lgkmcnt(0)
	s_mul_i32 s31, s31, s30
	s_branch .LBB86_6
.LBB86_5:                               ;   in Loop: Header=BB86_6 Depth=2
	v_add_u32_e32 v4, s31, v4
	v_cmp_le_u32_e32 vcc, s9, v4
	s_or_b64 s[28:29], vcc, s[28:29]
	s_andn2_b64 exec, exec, s[28:29]
	s_cbranch_execz .LBB86_2
.LBB86_6:                               ;   Parent Loop BB86_3 Depth=1
                                        ; =>  This Loop Header: Depth=2
                                        ;       Child Loop BB86_8 Depth 3
	s_and_b64 vcc, exec, s[4:5]
	s_cbranch_vccnz .LBB86_5
; %bb.7:                                ;   in Loop: Header=BB86_6 Depth=2
	v_lshl_add_u64 v[6:7], v[4:5], 4, s[26:27]
	v_mov_b64_e32 v[2:3], s[18:19]
	v_mov_b64_e32 v[0:1], s[16:17]
	s_mov_b32 s33, s10
.LBB86_8:                               ;   Parent Loop BB86_3 Depth=1
                                        ;     Parent Loop BB86_6 Depth=2
                                        ; =>    This Inner Loop Header: Depth=3
	v_lshl_add_u64 v[10:11], s[14:15], 0, v[6:7]
	global_load_dwordx4 v[10:13], v[10:11], off offset:-8
	s_add_i32 s33, s33, -1
	v_lshl_add_u64 v[14:15], s[12:13], 0, v[6:7]
	v_lshl_add_u64 v[6:7], v[6:7], 0, s[22:23]
	s_cmp_eq_u32 s33, 0
	s_waitcnt vmcnt(0)
	v_add_f64 v[0:1], v[0:1], v[10:11]
	v_add_f64 v[2:3], v[2:3], v[12:13]
	global_store_dwordx4 v[14:15], v[0:3], off offset:-8
	s_cbranch_scc0 .LBB86_8
	s_branch .LBB86_5
.LBB86_9:
	s_endpgm
	.section	.rodata,"a",@progbits
	.p2align	6, 0x0
	.amdhsa_kernel _ZN2at6native28tensor_kernel_scan_outer_dimIN3c107complexIdEEjSt4plusIS4_EEEvPT_PKS7_jjjS7_T1_
		.amdhsa_group_segment_fixed_size 0
		.amdhsa_private_segment_fixed_size 0
		.amdhsa_kernarg_size 312
		.amdhsa_user_sgpr_count 2
		.amdhsa_user_sgpr_dispatch_ptr 0
		.amdhsa_user_sgpr_queue_ptr 0
		.amdhsa_user_sgpr_kernarg_segment_ptr 1
		.amdhsa_user_sgpr_dispatch_id 0
		.amdhsa_user_sgpr_kernarg_preload_length 0
		.amdhsa_user_sgpr_kernarg_preload_offset 0
		.amdhsa_user_sgpr_private_segment_size 0
		.amdhsa_uses_dynamic_stack 0
		.amdhsa_enable_private_segment 0
		.amdhsa_system_sgpr_workgroup_id_x 1
		.amdhsa_system_sgpr_workgroup_id_y 1
		.amdhsa_system_sgpr_workgroup_id_z 0
		.amdhsa_system_sgpr_workgroup_info 0
		.amdhsa_system_vgpr_workitem_id 0
		.amdhsa_next_free_vgpr 16
		.amdhsa_next_free_sgpr 34
		.amdhsa_accum_offset 16
		.amdhsa_reserve_vcc 1
		.amdhsa_float_round_mode_32 0
		.amdhsa_float_round_mode_16_64 0
		.amdhsa_float_denorm_mode_32 3
		.amdhsa_float_denorm_mode_16_64 3
		.amdhsa_dx10_clamp 1
		.amdhsa_ieee_mode 1
		.amdhsa_fp16_overflow 0
		.amdhsa_tg_split 0
		.amdhsa_exception_fp_ieee_invalid_op 0
		.amdhsa_exception_fp_denorm_src 0
		.amdhsa_exception_fp_ieee_div_zero 0
		.amdhsa_exception_fp_ieee_overflow 0
		.amdhsa_exception_fp_ieee_underflow 0
		.amdhsa_exception_fp_ieee_inexact 0
		.amdhsa_exception_int_div_zero 0
	.end_amdhsa_kernel
	.section	.text._ZN2at6native28tensor_kernel_scan_outer_dimIN3c107complexIdEEjSt4plusIS4_EEEvPT_PKS7_jjjS7_T1_,"axG",@progbits,_ZN2at6native28tensor_kernel_scan_outer_dimIN3c107complexIdEEjSt4plusIS4_EEEvPT_PKS7_jjjS7_T1_,comdat
.Lfunc_end86:
	.size	_ZN2at6native28tensor_kernel_scan_outer_dimIN3c107complexIdEEjSt4plusIS4_EEEvPT_PKS7_jjjS7_T1_, .Lfunc_end86-_ZN2at6native28tensor_kernel_scan_outer_dimIN3c107complexIdEEjSt4plusIS4_EEEvPT_PKS7_jjjS7_T1_
                                        ; -- End function
	.section	.AMDGPU.csdata,"",@progbits
; Kernel info:
; codeLenInByte = 344
; NumSgprs: 40
; NumVgprs: 16
; NumAgprs: 0
; TotalNumVgprs: 16
; ScratchSize: 0
; MemoryBound: 0
; FloatMode: 240
; IeeeMode: 1
; LDSByteSize: 0 bytes/workgroup (compile time only)
; SGPRBlocks: 4
; VGPRBlocks: 1
; NumSGPRsForWavesPerEU: 40
; NumVGPRsForWavesPerEU: 16
; AccumOffset: 16
; Occupancy: 8
; WaveLimiterHint : 0
; COMPUTE_PGM_RSRC2:SCRATCH_EN: 0
; COMPUTE_PGM_RSRC2:USER_SGPR: 2
; COMPUTE_PGM_RSRC2:TRAP_HANDLER: 0
; COMPUTE_PGM_RSRC2:TGID_X_EN: 1
; COMPUTE_PGM_RSRC2:TGID_Y_EN: 1
; COMPUTE_PGM_RSRC2:TGID_Z_EN: 0
; COMPUTE_PGM_RSRC2:TIDIG_COMP_CNT: 0
; COMPUTE_PGM_RSRC3_GFX90A:ACCUM_OFFSET: 3
; COMPUTE_PGM_RSRC3_GFX90A:TG_SPLIT: 0
	.section	.text._ZN2at6native28tensor_kernel_scan_outer_dimIN3c107complexIdEEmSt4plusIS4_EEEvPT_PKS7_jjjS7_T1_,"axG",@progbits,_ZN2at6native28tensor_kernel_scan_outer_dimIN3c107complexIdEEmSt4plusIS4_EEEvPT_PKS7_jjjS7_T1_,comdat
	.protected	_ZN2at6native28tensor_kernel_scan_outer_dimIN3c107complexIdEEmSt4plusIS4_EEEvPT_PKS7_jjjS7_T1_ ; -- Begin function _ZN2at6native28tensor_kernel_scan_outer_dimIN3c107complexIdEEmSt4plusIS4_EEEvPT_PKS7_jjjS7_T1_
	.globl	_ZN2at6native28tensor_kernel_scan_outer_dimIN3c107complexIdEEmSt4plusIS4_EEEvPT_PKS7_jjjS7_T1_
	.p2align	8
	.type	_ZN2at6native28tensor_kernel_scan_outer_dimIN3c107complexIdEEmSt4plusIS4_EEEvPT_PKS7_jjjS7_T1_,@function
_ZN2at6native28tensor_kernel_scan_outer_dimIN3c107complexIdEEmSt4plusIS4_EEEvPT_PKS7_jjjS7_T1_: ; @_ZN2at6native28tensor_kernel_scan_outer_dimIN3c107complexIdEEmSt4plusIS4_EEEvPT_PKS7_jjjS7_T1_
; %bb.0:
	s_load_dwordx4 s[8:11], s[0:1], 0x10
	s_waitcnt lgkmcnt(0)
	s_cmp_ge_u32 s2, s8
	s_cbranch_scc1 .LBB87_9
; %bb.1:
	s_load_dword s11, s[0:1], 0x38
	s_load_dword s4, s[0:1], 0x44
	s_load_dwordx4 s[12:15], s[0:1], 0x0
	s_load_dwordx4 s[16:19], s[0:1], 0x20
	s_add_u32 s6, s0, 56
	s_addc_u32 s7, s1, 0
	s_waitcnt lgkmcnt(0)
	s_and_b32 s30, s4, 0xffff
	s_cmp_lg_u32 s10, 0
	s_mul_i32 s3, s3, s30
	s_cselect_b64 s[24:25], -1, 0
	v_add_u32_e32 v8, s3, v0
	s_mov_b32 s5, 0
	s_mov_b32 s4, s9
	s_mul_hi_u32 s21, s10, s9
	s_mul_i32 s20, s10, s9
	v_cndmask_b32_e64 v0, 0, 1, s[24:25]
	v_cmp_gt_u32_e64 s[0:1], s9, v8
	s_lshl_b64 s[20:21], s[20:21], 4
	s_lshl_b64 s[22:23], s[4:5], 4
	v_cmp_ne_u32_e64 s[4:5], 1, v0
	v_mov_b32_e32 v5, 0
	s_branch .LBB87_3
.LBB87_2:                               ;   in Loop: Header=BB87_3 Depth=1
	s_or_b64 exec, exec, s[24:25]
	s_add_i32 s2, s2, s11
	s_cmp_ge_u32 s2, s8
	s_cbranch_scc1 .LBB87_9
.LBB87_3:                               ; =>This Loop Header: Depth=1
                                        ;     Child Loop BB87_6 Depth 2
                                        ;       Child Loop BB87_8 Depth 3
	s_and_saveexec_b64 s[24:25], s[0:1]
	s_cbranch_execz .LBB87_2
; %bb.4:                                ;   in Loop: Header=BB87_3 Depth=1
	s_load_dword s3, s[6:7], 0x4
	s_mul_i32 s26, s21, s2
	s_mul_hi_u32 s27, s20, s2
	s_mul_i32 s28, s20, s2
	s_add_i32 s27, s27, s26
	s_add_u32 s26, s28, 8
	s_waitcnt lgkmcnt(0)
	s_mul_i32 s3, s3, s30
	s_addc_u32 s27, s27, 0
	s_mov_b64 s[28:29], 0
	v_mov_b32_e32 v4, v8
	s_branch .LBB87_6
.LBB87_5:                               ;   in Loop: Header=BB87_6 Depth=2
	v_add_u32_e32 v4, s3, v4
	v_cmp_le_u32_e32 vcc, s9, v4
	s_or_b64 s[28:29], vcc, s[28:29]
	s_andn2_b64 exec, exec, s[28:29]
	s_cbranch_execz .LBB87_2
.LBB87_6:                               ;   Parent Loop BB87_3 Depth=1
                                        ; =>  This Loop Header: Depth=2
                                        ;       Child Loop BB87_8 Depth 3
	s_and_b64 vcc, exec, s[4:5]
	s_cbranch_vccnz .LBB87_5
; %bb.7:                                ;   in Loop: Header=BB87_6 Depth=2
	v_lshl_add_u64 v[6:7], v[4:5], 4, s[26:27]
	v_mov_b64_e32 v[2:3], s[18:19]
	v_mov_b64_e32 v[0:1], s[16:17]
	s_mov_b32 s31, s10
.LBB87_8:                               ;   Parent Loop BB87_3 Depth=1
                                        ;     Parent Loop BB87_6 Depth=2
                                        ; =>    This Inner Loop Header: Depth=3
	v_lshl_add_u64 v[10:11], s[14:15], 0, v[6:7]
	global_load_dwordx4 v[10:13], v[10:11], off offset:-8
	s_add_i32 s31, s31, -1
	v_lshl_add_u64 v[14:15], s[12:13], 0, v[6:7]
	v_lshl_add_u64 v[6:7], v[6:7], 0, s[22:23]
	s_cmp_eq_u32 s31, 0
	s_waitcnt vmcnt(0)
	v_add_f64 v[0:1], v[0:1], v[10:11]
	v_add_f64 v[2:3], v[2:3], v[12:13]
	global_store_dwordx4 v[14:15], v[0:3], off offset:-8
	s_cbranch_scc0 .LBB87_8
	s_branch .LBB87_5
.LBB87_9:
	s_endpgm
	.section	.rodata,"a",@progbits
	.p2align	6, 0x0
	.amdhsa_kernel _ZN2at6native28tensor_kernel_scan_outer_dimIN3c107complexIdEEmSt4plusIS4_EEEvPT_PKS7_jjjS7_T1_
		.amdhsa_group_segment_fixed_size 0
		.amdhsa_private_segment_fixed_size 0
		.amdhsa_kernarg_size 312
		.amdhsa_user_sgpr_count 2
		.amdhsa_user_sgpr_dispatch_ptr 0
		.amdhsa_user_sgpr_queue_ptr 0
		.amdhsa_user_sgpr_kernarg_segment_ptr 1
		.amdhsa_user_sgpr_dispatch_id 0
		.amdhsa_user_sgpr_kernarg_preload_length 0
		.amdhsa_user_sgpr_kernarg_preload_offset 0
		.amdhsa_user_sgpr_private_segment_size 0
		.amdhsa_uses_dynamic_stack 0
		.amdhsa_enable_private_segment 0
		.amdhsa_system_sgpr_workgroup_id_x 1
		.amdhsa_system_sgpr_workgroup_id_y 1
		.amdhsa_system_sgpr_workgroup_id_z 0
		.amdhsa_system_sgpr_workgroup_info 0
		.amdhsa_system_vgpr_workitem_id 0
		.amdhsa_next_free_vgpr 16
		.amdhsa_next_free_sgpr 32
		.amdhsa_accum_offset 16
		.amdhsa_reserve_vcc 1
		.amdhsa_float_round_mode_32 0
		.amdhsa_float_round_mode_16_64 0
		.amdhsa_float_denorm_mode_32 3
		.amdhsa_float_denorm_mode_16_64 3
		.amdhsa_dx10_clamp 1
		.amdhsa_ieee_mode 1
		.amdhsa_fp16_overflow 0
		.amdhsa_tg_split 0
		.amdhsa_exception_fp_ieee_invalid_op 0
		.amdhsa_exception_fp_denorm_src 0
		.amdhsa_exception_fp_ieee_div_zero 0
		.amdhsa_exception_fp_ieee_overflow 0
		.amdhsa_exception_fp_ieee_underflow 0
		.amdhsa_exception_fp_ieee_inexact 0
		.amdhsa_exception_int_div_zero 0
	.end_amdhsa_kernel
	.section	.text._ZN2at6native28tensor_kernel_scan_outer_dimIN3c107complexIdEEmSt4plusIS4_EEEvPT_PKS7_jjjS7_T1_,"axG",@progbits,_ZN2at6native28tensor_kernel_scan_outer_dimIN3c107complexIdEEmSt4plusIS4_EEEvPT_PKS7_jjjS7_T1_,comdat
.Lfunc_end87:
	.size	_ZN2at6native28tensor_kernel_scan_outer_dimIN3c107complexIdEEmSt4plusIS4_EEEvPT_PKS7_jjjS7_T1_, .Lfunc_end87-_ZN2at6native28tensor_kernel_scan_outer_dimIN3c107complexIdEEmSt4plusIS4_EEEvPT_PKS7_jjjS7_T1_
                                        ; -- End function
	.section	.AMDGPU.csdata,"",@progbits
; Kernel info:
; codeLenInByte = 348
; NumSgprs: 38
; NumVgprs: 16
; NumAgprs: 0
; TotalNumVgprs: 16
; ScratchSize: 0
; MemoryBound: 0
; FloatMode: 240
; IeeeMode: 1
; LDSByteSize: 0 bytes/workgroup (compile time only)
; SGPRBlocks: 4
; VGPRBlocks: 1
; NumSGPRsForWavesPerEU: 38
; NumVGPRsForWavesPerEU: 16
; AccumOffset: 16
; Occupancy: 8
; WaveLimiterHint : 0
; COMPUTE_PGM_RSRC2:SCRATCH_EN: 0
; COMPUTE_PGM_RSRC2:USER_SGPR: 2
; COMPUTE_PGM_RSRC2:TRAP_HANDLER: 0
; COMPUTE_PGM_RSRC2:TGID_X_EN: 1
; COMPUTE_PGM_RSRC2:TGID_Y_EN: 1
; COMPUTE_PGM_RSRC2:TGID_Z_EN: 0
; COMPUTE_PGM_RSRC2:TIDIG_COMP_CNT: 0
; COMPUTE_PGM_RSRC3_GFX90A:ACCUM_OFFSET: 3
; COMPUTE_PGM_RSRC3_GFX90A:TG_SPLIT: 0
	.section	.text._ZN2at4cuda3cub15calc_block_sumsILi256ELi16ELb0EN3c107complexIfEES5_EEvPKT2_PT3_li,"axG",@progbits,_ZN2at4cuda3cub15calc_block_sumsILi256ELi16ELb0EN3c107complexIfEES5_EEvPKT2_PT3_li,comdat
	.protected	_ZN2at4cuda3cub15calc_block_sumsILi256ELi16ELb0EN3c107complexIfEES5_EEvPKT2_PT3_li ; -- Begin function _ZN2at4cuda3cub15calc_block_sumsILi256ELi16ELb0EN3c107complexIfEES5_EEvPKT2_PT3_li
	.globl	_ZN2at4cuda3cub15calc_block_sumsILi256ELi16ELb0EN3c107complexIfEES5_EEvPKT2_PT3_li
	.p2align	8
	.type	_ZN2at4cuda3cub15calc_block_sumsILi256ELi16ELb0EN3c107complexIfEES5_EEvPKT2_PT3_li,@function
_ZN2at4cuda3cub15calc_block_sumsILi256ELi16ELb0EN3c107complexIfEES5_EEvPKT2_PT3_li: ; @_ZN2at4cuda3cub15calc_block_sumsILi256ELi16ELb0EN3c107complexIfEES5_EEvPKT2_PT3_li
; %bb.0:
	s_load_dword s14, s[0:1], 0x18
	s_load_dwordx2 s[4:5], s[0:1], 0x10
	s_waitcnt lgkmcnt(0)
	s_lshl_b32 s3, s14, 12
	s_ashr_i32 s6, s3, 31
	s_mul_hi_u32 s7, s3, s2
	s_mul_i32 s6, s6, s2
	s_add_i32 s11, s7, s6
	s_mul_i32 s10, s3, s2
	s_sub_u32 s8, s4, s10
	s_subb_u32 s9, s5, s11
	v_cmp_lt_i64_e64 s[4:5], s[8:9], 1
	s_and_b64 vcc, exec, s[4:5]
	s_cbranch_vccnz .LBB88_56
; %bb.1:
	s_load_dwordx4 s[4:7], s[0:1], 0x0
	s_cmp_gt_i32 s14, 0
	s_mov_b32 s3, 0
	s_cbranch_scc1 .LBB88_3
; %bb.2:
	s_mov_b64 s[0:1], -1
	v_mov_b32_e32 v3, s3
	v_mov_b32_e32 v2, s3
	s_cbranch_execz .LBB88_4
	s_branch .LBB88_53
.LBB88_3:
	s_mov_b64 s[0:1], 0
	v_mov_b32_e32 v3, s3
	v_mov_b32_e32 v2, s3
.LBB88_4:
	s_lshl_b64 s[10:11], s[10:11], 3
	v_lshrrev_b32_e32 v2, 3, v0
	s_waitcnt lgkmcnt(0)
	s_add_u32 s4, s4, s10
	v_and_b32_e32 v54, 0x78, v2
	v_lshlrev_b32_e32 v2, 3, v0
	v_mov_b32_e32 v3, 0
	s_addc_u32 s5, s5, s11
	v_lshl_add_u64 v[6:7], s[4:5], 0, v[2:3]
	v_mbcnt_lo_u32_b32 v2, -1, 0
	v_mbcnt_hi_u32_b32 v55, -1, v2
	v_bfrev_b32_e32 v2, 0.5
	v_add_u32_e32 v1, 0x100, v0
	v_add_u32_e32 v40, 0x200, v0
	v_add_u32_e32 v41, 0x300, v0
	v_or_b32_e32 v42, 0x400, v0
	v_add_u32_e32 v43, 0x500, v0
	v_add_u32_e32 v44, 0x600, v0
	v_add_u32_e32 v45, 0x700, v0
	v_or_b32_e32 v46, 0x800, v0
	;; [unrolled: 4-line block ×3, first 2 shown]
	v_add_u32_e32 v51, 0xd00, v0
	v_add_u32_e32 v52, 0xe00, v0
	;; [unrolled: 1-line block ×3, first 2 shown]
	v_cmp_gt_u32_e64 s[0:1], 64, v0
	v_mov_b64_e32 v[4:5], 0x1000
	s_mov_b64 s[4:5], 0x8000
	v_lshl_or_b32 v56, v55, 2, v2
	v_mov_b32_e32 v2, v3
	s_branch .LBB88_6
.LBB88_5:                               ;   in Loop: Header=BB88_6 Depth=1
	s_add_u32 s8, s8, 0xfffff000
	s_addc_u32 s9, s9, -1
	s_add_i32 s14, s14, -1
	s_cmp_eq_u32 s14, 0
	v_pk_add_f32 v[2:3], v[2:3], v[8:9]
	v_lshl_add_u64 v[6:7], v[6:7], 0, s[4:5]
	s_mov_b64 s[10:11], 0
	s_cselect_b64 s[12:13], -1, 0
	s_barrier
	s_andn2_b64 vcc, exec, s[12:13]
	s_cbranch_vccz .LBB88_52
.LBB88_6:                               ; =>This Inner Loop Header: Depth=1
	v_cmp_lt_i64_e32 vcc, s[8:9], v[4:5]
	s_cbranch_vccz .LBB88_44
; %bb.7:                                ;   in Loop: Header=BB88_6 Depth=1
	v_cmp_gt_u32_e32 vcc, s8, v0
	v_mov_b32_e32 v8, 0
	v_mov_b32_e32 v10, 0
	;; [unrolled: 1-line block ×3, first 2 shown]
	s_and_saveexec_b64 s[10:11], vcc
	s_cbranch_execz .LBB88_9
; %bb.8:                                ;   in Loop: Header=BB88_6 Depth=1
	global_load_dwordx2 v[10:11], v[6:7], off
.LBB88_9:                               ;   in Loop: Header=BB88_6 Depth=1
	s_or_b64 exec, exec, s[10:11]
	v_cmp_gt_u32_e32 vcc, s8, v1
	v_mov_b32_e32 v9, 0
	s_and_saveexec_b64 s[10:11], vcc
	s_cbranch_execz .LBB88_11
; %bb.10:                               ;   in Loop: Header=BB88_6 Depth=1
	global_load_dwordx2 v[8:9], v[6:7], off offset:2048
.LBB88_11:                              ;   in Loop: Header=BB88_6 Depth=1
	s_or_b64 exec, exec, s[10:11]
	v_cmp_gt_u32_e32 vcc, s8, v40
	v_mov_b32_e32 v12, 0
	v_mov_b32_e32 v14, 0
	v_mov_b32_e32 v15, 0
	s_and_saveexec_b64 s[10:11], vcc
	s_cbranch_execz .LBB88_13
; %bb.12:                               ;   in Loop: Header=BB88_6 Depth=1
	v_add_co_u32_e32 v14, vcc, 0x1000, v6
	s_nop 1
	v_addc_co_u32_e32 v15, vcc, 0, v7, vcc
	global_load_dwordx2 v[14:15], v[14:15], off
.LBB88_13:                              ;   in Loop: Header=BB88_6 Depth=1
	s_or_b64 exec, exec, s[10:11]
	v_cmp_gt_u32_e32 vcc, s8, v41
	v_mov_b32_e32 v13, 0
	s_and_saveexec_b64 s[10:11], vcc
	s_cbranch_execz .LBB88_15
; %bb.14:                               ;   in Loop: Header=BB88_6 Depth=1
	v_add_co_u32_e32 v12, vcc, 0x1000, v6
	s_nop 1
	v_addc_co_u32_e32 v13, vcc, 0, v7, vcc
	global_load_dwordx2 v[12:13], v[12:13], off offset:2048
.LBB88_15:                              ;   in Loop: Header=BB88_6 Depth=1
	s_or_b64 exec, exec, s[10:11]
	v_cmp_gt_u32_e32 vcc, s8, v42
	v_mov_b32_e32 v16, 0
	v_mov_b32_e32 v18, 0
	v_mov_b32_e32 v19, 0
	s_and_saveexec_b64 s[10:11], vcc
	s_cbranch_execz .LBB88_17
; %bb.16:                               ;   in Loop: Header=BB88_6 Depth=1
	v_add_co_u32_e32 v18, vcc, 0x2000, v6
	s_nop 1
	v_addc_co_u32_e32 v19, vcc, 0, v7, vcc
	global_load_dwordx2 v[18:19], v[18:19], off
.LBB88_17:                              ;   in Loop: Header=BB88_6 Depth=1
	s_or_b64 exec, exec, s[10:11]
	v_cmp_gt_u32_e32 vcc, s8, v43
	v_mov_b32_e32 v17, 0
	s_and_saveexec_b64 s[10:11], vcc
	s_cbranch_execz .LBB88_19
; %bb.18:                               ;   in Loop: Header=BB88_6 Depth=1
	v_add_co_u32_e32 v16, vcc, 0x2000, v6
	s_nop 1
	v_addc_co_u32_e32 v17, vcc, 0, v7, vcc
	global_load_dwordx2 v[16:17], v[16:17], off offset:2048
.LBB88_19:                              ;   in Loop: Header=BB88_6 Depth=1
	;; [unrolled: 24-line block ×7, first 2 shown]
	s_or_b64 exec, exec, s[10:11]
	s_waitcnt vmcnt(0)
	v_pk_add_f32 v[8:9], v[8:9], v[10:11]
	v_cmp_eq_u32_e32 vcc, 0, v55
	v_pk_add_f32 v[8:9], v[8:9], v[14:15]
	s_nop 0
	v_pk_add_f32 v[8:9], v[8:9], v[12:13]
	s_barrier
	v_pk_add_f32 v[8:9], v[8:9], v[18:19]
	s_nop 0
	v_pk_add_f32 v[8:9], v[8:9], v[16:17]
	s_nop 0
	;; [unrolled: 2-line block ×12, first 2 shown]
	v_mov_b32_dpp v10, v8 quad_perm:[1,0,3,2] row_mask:0xf bank_mask:0xf
	v_mov_b32_dpp v11, v9 quad_perm:[1,0,3,2] row_mask:0xf bank_mask:0xf
	v_add_f32_e32 v8, v8, v10
	v_add_f32_e32 v9, v9, v11
	s_nop 0
	v_mov_b32_dpp v10, v8 quad_perm:[2,3,0,1] row_mask:0xf bank_mask:0xf
	v_mov_b32_dpp v11, v9 quad_perm:[2,3,0,1] row_mask:0xf bank_mask:0xf
	v_add_f32_e32 v8, v8, v10
	v_add_f32_e32 v9, v9, v11
	s_nop 0
	v_mov_b32_dpp v10, v8 row_ror:4 row_mask:0xf bank_mask:0xf
	v_mov_b32_dpp v11, v9 row_ror:4 row_mask:0xf bank_mask:0xf
	v_add_f32_e32 v8, v8, v10
	v_add_f32_e32 v9, v9, v11
	s_nop 0
	v_mov_b32_dpp v10, v8 row_ror:8 row_mask:0xf bank_mask:0xf
	v_mov_b32_dpp v11, v9 row_ror:8 row_mask:0xf bank_mask:0xf
	v_add_f32_e32 v8, v8, v10
	v_add_f32_e32 v9, v9, v11
	s_nop 0
	v_mov_b32_dpp v10, v8 row_bcast:15 row_mask:0xf bank_mask:0xf
	v_mov_b32_dpp v11, v9 row_bcast:15 row_mask:0xf bank_mask:0xf
	v_add_f32_e32 v8, v8, v10
	v_add_f32_e32 v9, v9, v11
	s_nop 0
	v_mov_b32_dpp v10, v8 row_bcast:31 row_mask:0xf bank_mask:0xf
	v_mov_b32_dpp v11, v9 row_bcast:31 row_mask:0xf bank_mask:0xf
	v_add_f32_e32 v8, v8, v10
	v_add_f32_e32 v9, v9, v11
	ds_bpermute_b32 v8, v56, v8
	ds_bpermute_b32 v9, v56, v9
	s_and_saveexec_b64 s[10:11], vcc
	s_cbranch_execz .LBB88_41
; %bb.40:                               ;   in Loop: Header=BB88_6 Depth=1
	s_waitcnt lgkmcnt(0)
	ds_write_b64 v54, v[8:9]
.LBB88_41:                              ;   in Loop: Header=BB88_6 Depth=1
	s_or_b64 exec, exec, s[10:11]
	s_waitcnt lgkmcnt(0)
	s_barrier
	s_and_saveexec_b64 s[10:11], s[0:1]
	s_cbranch_execz .LBB88_43
; %bb.42:                               ;   in Loop: Header=BB88_6 Depth=1
	v_and_b32_e32 v12, 3, v55
	v_lshlrev_b32_e32 v8, 3, v12
	ds_read_b64 v[8:9], v8
	v_cmp_ne_u32_e32 vcc, 3, v12
	s_nop 1
	v_addc_co_u32_e32 v10, vcc, 0, v55, vcc
	v_lshlrev_b32_e32 v11, 2, v10
	s_waitcnt lgkmcnt(0)
	ds_bpermute_b32 v10, v11, v8
	ds_bpermute_b32 v11, v11, v9
	v_cmp_gt_u32_e32 vcc, 2, v12
	s_waitcnt lgkmcnt(0)
	v_pk_add_f32 v[8:9], v[8:9], v[10:11]
	v_cndmask_b32_e64 v12, 0, 1, vcc
	v_lshlrev_b32_e32 v12, 1, v12
	v_add_lshl_u32 v12, v12, v55, 2
	ds_bpermute_b32 v10, v12, v8
	ds_bpermute_b32 v11, v12, v9
	s_waitcnt lgkmcnt(0)
	v_pk_add_f32 v[8:9], v[8:9], v[10:11]
.LBB88_43:                              ;   in Loop: Header=BB88_6 Depth=1
	s_or_b64 exec, exec, s[10:11]
	s_branch .LBB88_50
.LBB88_44:                              ;   in Loop: Header=BB88_6 Depth=1
                                        ; implicit-def: $vgpr9
	s_cbranch_execz .LBB88_50
; %bb.45:                               ;   in Loop: Header=BB88_6 Depth=1
	global_load_dwordx2 v[8:9], v[6:7], off
	global_load_dwordx2 v[10:11], v[6:7], off offset:2048
	v_add_co_u32_e32 v12, vcc, 0x1000, v6
	s_waitcnt vmcnt(0)
	v_add_f32_e32 v8, v10, v8
	v_addc_co_u32_e32 v13, vcc, 0, v7, vcc
	v_add_co_u32_e32 v14, vcc, 0x2000, v6
	v_add_f32_e32 v9, v11, v9
	s_nop 0
	v_addc_co_u32_e32 v15, vcc, 0, v7, vcc
	global_load_dwordx2 v[16:17], v[12:13], off
	global_load_dwordx2 v[18:19], v[12:13], off offset:2048
	global_load_dwordx2 v[20:21], v[14:15], off
	global_load_dwordx2 v[22:23], v[14:15], off offset:2048
	v_add_co_u32_e32 v12, vcc, 0x3000, v6
	s_waitcnt vmcnt(3)
	v_add_f32_e32 v8, v8, v16
	v_addc_co_u32_e32 v13, vcc, 0, v7, vcc
	v_add_co_u32_e32 v14, vcc, 0x4000, v6
	v_add_f32_e32 v9, v9, v17
	s_nop 0
	v_addc_co_u32_e32 v15, vcc, 0, v7, vcc
	global_load_dwordx2 v[24:25], v[12:13], off
	global_load_dwordx2 v[26:27], v[12:13], off offset:2048
	;; [unrolled: 12-line block ×3, first 2 shown]
	global_load_dwordx2 v[36:37], v[14:15], off
	global_load_dwordx2 v[38:39], v[14:15], off offset:2048
	v_add_co_u32_e32 v12, vcc, 0x7000, v6
	s_waitcnt vmcnt(9)
	v_add_f32_e32 v8, v8, v20
	v_addc_co_u32_e32 v13, vcc, 0, v7, vcc
	global_load_dwordx2 v[14:15], v[12:13], off
	global_load_dwordx2 v[58:59], v[12:13], off offset:2048
	v_add_f32_e32 v9, v9, v21
	s_waitcnt vmcnt(10)
	v_add_f32_e32 v8, v8, v22
	v_add_f32_e32 v9, v9, v23
	v_cmp_eq_u32_e32 vcc, 0, v55
	s_barrier
	s_waitcnt vmcnt(9)
	v_add_f32_e32 v8, v8, v24
	v_add_f32_e32 v9, v9, v25
	s_waitcnt vmcnt(8)
	v_add_f32_e32 v8, v8, v26
	v_add_f32_e32 v9, v9, v27
	;; [unrolled: 3-line block ×10, first 2 shown]
	s_nop 0
	v_mov_b32_dpp v10, v8 quad_perm:[1,0,3,2] row_mask:0xf bank_mask:0xf
	v_mov_b32_dpp v11, v9 quad_perm:[1,0,3,2] row_mask:0xf bank_mask:0xf
	v_add_f32_e32 v8, v8, v10
	v_add_f32_e32 v9, v9, v11
	s_nop 0
	v_mov_b32_dpp v10, v8 quad_perm:[2,3,0,1] row_mask:0xf bank_mask:0xf
	v_mov_b32_dpp v11, v9 quad_perm:[2,3,0,1] row_mask:0xf bank_mask:0xf
	v_add_f32_e32 v8, v8, v10
	v_add_f32_e32 v9, v9, v11
	s_nop 0
	v_mov_b32_dpp v10, v8 row_ror:4 row_mask:0xf bank_mask:0xf
	v_mov_b32_dpp v11, v9 row_ror:4 row_mask:0xf bank_mask:0xf
	v_add_f32_e32 v8, v8, v10
	v_add_f32_e32 v9, v9, v11
	s_nop 0
	v_mov_b32_dpp v10, v8 row_ror:8 row_mask:0xf bank_mask:0xf
	v_mov_b32_dpp v11, v9 row_ror:8 row_mask:0xf bank_mask:0xf
	v_add_f32_e32 v8, v8, v10
	v_add_f32_e32 v9, v9, v11
	s_nop 0
	v_mov_b32_dpp v10, v8 row_bcast:15 row_mask:0xf bank_mask:0xf
	v_mov_b32_dpp v11, v9 row_bcast:15 row_mask:0xf bank_mask:0xf
	v_add_f32_e32 v8, v8, v10
	v_add_f32_e32 v9, v9, v11
	s_nop 0
	v_mov_b32_dpp v10, v8 row_bcast:31 row_mask:0xf bank_mask:0xf
	v_mov_b32_dpp v11, v9 row_bcast:31 row_mask:0xf bank_mask:0xf
	v_add_f32_e32 v8, v8, v10
	v_add_f32_e32 v9, v9, v11
	ds_bpermute_b32 v8, v56, v8
	ds_bpermute_b32 v9, v56, v9
	s_and_saveexec_b64 s[10:11], vcc
	s_cbranch_execz .LBB88_47
; %bb.46:                               ;   in Loop: Header=BB88_6 Depth=1
	s_waitcnt lgkmcnt(0)
	ds_write_b64 v54, v[8:9]
.LBB88_47:                              ;   in Loop: Header=BB88_6 Depth=1
	s_or_b64 exec, exec, s[10:11]
	s_waitcnt lgkmcnt(0)
	s_barrier
	s_and_saveexec_b64 s[10:11], s[0:1]
	s_cbranch_execz .LBB88_49
; %bb.48:                               ;   in Loop: Header=BB88_6 Depth=1
	v_and_b32_e32 v12, 3, v55
	v_lshlrev_b32_e32 v8, 3, v12
	ds_read_b64 v[8:9], v8
	v_cmp_ne_u32_e32 vcc, 3, v12
	s_nop 1
	v_addc_co_u32_e32 v10, vcc, 0, v55, vcc
	v_lshlrev_b32_e32 v11, 2, v10
	s_waitcnt lgkmcnt(0)
	ds_bpermute_b32 v10, v11, v8
	ds_bpermute_b32 v11, v11, v9
	v_cmp_gt_u32_e32 vcc, 2, v12
	s_waitcnt lgkmcnt(0)
	v_pk_add_f32 v[8:9], v[8:9], v[10:11]
	v_cndmask_b32_e64 v12, 0, 1, vcc
	v_lshlrev_b32_e32 v12, 1, v12
	v_add_lshl_u32 v12, v12, v55, 2
	ds_bpermute_b32 v10, v12, v8
	ds_bpermute_b32 v11, v12, v9
	s_waitcnt lgkmcnt(0)
	v_pk_add_f32 v[8:9], v[8:9], v[10:11]
.LBB88_49:                              ;   in Loop: Header=BB88_6 Depth=1
	s_or_b64 exec, exec, s[10:11]
.LBB88_50:                              ;   in Loop: Header=BB88_6 Depth=1
	v_mov_b64_e32 v[10:11], 0x1001
	v_cmp_lt_i64_e32 vcc, s[8:9], v[10:11]
	s_cbranch_vccz .LBB88_5
; %bb.51:
	s_mov_b64 s[10:11], -1
                                        ; implicit-def: $sgpr8_sgpr9
                                        ; implicit-def: $sgpr14
                                        ; implicit-def: $vgpr6_vgpr7
                                        ; implicit-def: $vgpr2
.LBB88_52:
	s_xor_b64 s[0:1], s[10:11], -1
.LBB88_53:
	s_and_b64 vcc, exec, s[0:1]
	s_cbranch_vccz .LBB88_56
; %bb.54:
	v_cmp_eq_u32_e32 vcc, 0, v0
	s_and_saveexec_b64 s[0:1], vcc
	s_cbranch_execz .LBB88_56
; %bb.55:
	s_lshl_b64 s[0:1], s[2:3], 3
	s_waitcnt lgkmcnt(0)
	s_add_u32 s0, s6, s0
	s_addc_u32 s1, s7, s1
	v_mov_b32_e32 v0, 0
	global_store_dwordx2 v0, v[2:3], s[0:1]
.LBB88_56:
	s_endpgm
	.section	.rodata,"a",@progbits
	.p2align	6, 0x0
	.amdhsa_kernel _ZN2at4cuda3cub15calc_block_sumsILi256ELi16ELb0EN3c107complexIfEES5_EEvPKT2_PT3_li
		.amdhsa_group_segment_fixed_size 32
		.amdhsa_private_segment_fixed_size 0
		.amdhsa_kernarg_size 28
		.amdhsa_user_sgpr_count 2
		.amdhsa_user_sgpr_dispatch_ptr 0
		.amdhsa_user_sgpr_queue_ptr 0
		.amdhsa_user_sgpr_kernarg_segment_ptr 1
		.amdhsa_user_sgpr_dispatch_id 0
		.amdhsa_user_sgpr_kernarg_preload_length 0
		.amdhsa_user_sgpr_kernarg_preload_offset 0
		.amdhsa_user_sgpr_private_segment_size 0
		.amdhsa_uses_dynamic_stack 0
		.amdhsa_enable_private_segment 0
		.amdhsa_system_sgpr_workgroup_id_x 1
		.amdhsa_system_sgpr_workgroup_id_y 0
		.amdhsa_system_sgpr_workgroup_id_z 0
		.amdhsa_system_sgpr_workgroup_info 0
		.amdhsa_system_vgpr_workitem_id 0
		.amdhsa_next_free_vgpr 60
		.amdhsa_next_free_sgpr 15
		.amdhsa_accum_offset 60
		.amdhsa_reserve_vcc 1
		.amdhsa_float_round_mode_32 0
		.amdhsa_float_round_mode_16_64 0
		.amdhsa_float_denorm_mode_32 3
		.amdhsa_float_denorm_mode_16_64 3
		.amdhsa_dx10_clamp 1
		.amdhsa_ieee_mode 1
		.amdhsa_fp16_overflow 0
		.amdhsa_tg_split 0
		.amdhsa_exception_fp_ieee_invalid_op 0
		.amdhsa_exception_fp_denorm_src 0
		.amdhsa_exception_fp_ieee_div_zero 0
		.amdhsa_exception_fp_ieee_overflow 0
		.amdhsa_exception_fp_ieee_underflow 0
		.amdhsa_exception_fp_ieee_inexact 0
		.amdhsa_exception_int_div_zero 0
	.end_amdhsa_kernel
	.section	.text._ZN2at4cuda3cub15calc_block_sumsILi256ELi16ELb0EN3c107complexIfEES5_EEvPKT2_PT3_li,"axG",@progbits,_ZN2at4cuda3cub15calc_block_sumsILi256ELi16ELb0EN3c107complexIfEES5_EEvPKT2_PT3_li,comdat
.Lfunc_end88:
	.size	_ZN2at4cuda3cub15calc_block_sumsILi256ELi16ELb0EN3c107complexIfEES5_EEvPKT2_PT3_li, .Lfunc_end88-_ZN2at4cuda3cub15calc_block_sumsILi256ELi16ELb0EN3c107complexIfEES5_EEvPKT2_PT3_li
                                        ; -- End function
	.section	.AMDGPU.csdata,"",@progbits
; Kernel info:
; codeLenInByte = 2508
; NumSgprs: 21
; NumVgprs: 60
; NumAgprs: 0
; TotalNumVgprs: 60
; ScratchSize: 0
; MemoryBound: 0
; FloatMode: 240
; IeeeMode: 1
; LDSByteSize: 32 bytes/workgroup (compile time only)
; SGPRBlocks: 2
; VGPRBlocks: 7
; NumSGPRsForWavesPerEU: 21
; NumVGPRsForWavesPerEU: 60
; AccumOffset: 60
; Occupancy: 8
; WaveLimiterHint : 1
; COMPUTE_PGM_RSRC2:SCRATCH_EN: 0
; COMPUTE_PGM_RSRC2:USER_SGPR: 2
; COMPUTE_PGM_RSRC2:TRAP_HANDLER: 0
; COMPUTE_PGM_RSRC2:TGID_X_EN: 1
; COMPUTE_PGM_RSRC2:TGID_Y_EN: 0
; COMPUTE_PGM_RSRC2:TGID_Z_EN: 0
; COMPUTE_PGM_RSRC2:TIDIG_COMP_CNT: 0
; COMPUTE_PGM_RSRC3_GFX90A:ACCUM_OFFSET: 14
; COMPUTE_PGM_RSRC3_GFX90A:TG_SPLIT: 0
	.section	.text._ZN2at4cuda3cub17final_scan_kernelILi256ELi16EN3c107complexIfEEEEvPKT1_PS6_S9_li,"axG",@progbits,_ZN2at4cuda3cub17final_scan_kernelILi256ELi16EN3c107complexIfEEEEvPKT1_PS6_S9_li,comdat
	.protected	_ZN2at4cuda3cub17final_scan_kernelILi256ELi16EN3c107complexIfEEEEvPKT1_PS6_S9_li ; -- Begin function _ZN2at4cuda3cub17final_scan_kernelILi256ELi16EN3c107complexIfEEEEvPKT1_PS6_S9_li
	.globl	_ZN2at4cuda3cub17final_scan_kernelILi256ELi16EN3c107complexIfEEEEvPKT1_PS6_S9_li
	.p2align	8
	.type	_ZN2at4cuda3cub17final_scan_kernelILi256ELi16EN3c107complexIfEEEEvPKT1_PS6_S9_li,@function
_ZN2at4cuda3cub17final_scan_kernelILi256ELi16EN3c107complexIfEEEEvPKT1_PS6_S9_li: ; @_ZN2at4cuda3cub17final_scan_kernelILi256ELi16EN3c107complexIfEEEEvPKT1_PS6_S9_li
; %bb.0:
	s_load_dword s33, s[0:1], 0x20
	s_load_dwordx8 s[36:43], s[0:1], 0x0
	s_waitcnt lgkmcnt(0)
	s_lshl_b32 s3, s33, 12
	s_ashr_i32 s4, s3, 31
	s_mul_hi_u32 s5, s3, s2
	s_mul_i32 s4, s4, s2
	s_add_i32 s29, s5, s4
	s_mul_i32 s28, s3, s2
	s_sub_u32 s30, s42, s28
	s_subb_u32 s31, s43, s29
	v_cmp_lt_i64_e64 s[4:5], s[30:31], 1
	s_and_b64 vcc, exec, s[4:5]
	s_cbranch_vccnz .LBB89_98
; %bb.1:
	s_mov_b32 s4, 0
	s_mov_b32 s5, s4
	v_cmp_gt_u32_e32 vcc, s2, v0
	v_mov_b64_e32 v[2:3], s[4:5]
	v_lshlrev_b32_e32 v76, 3, v0
	s_and_saveexec_b64 s[4:5], vcc
	s_cbranch_execz .LBB89_3
; %bb.2:
	global_load_dwordx2 v[2:3], v76, s[40:41]
.LBB89_3:
	s_or_b64 exec, exec, s[4:5]
	s_load_dword s0, s[0:1], 0x34
	s_waitcnt lgkmcnt(0)
	s_and_b32 s3, s0, 0xffff
	v_add_u32_e32 v4, s3, v0
	v_cmp_gt_u32_e32 vcc, s2, v4
	s_and_saveexec_b64 s[0:1], vcc
	s_cbranch_execz .LBB89_7
; %bb.4:
	s_mov_b64 s[4:5], 0
	v_mov_b32_e32 v5, 0
.LBB89_5:                               ; =>This Inner Loop Header: Depth=1
	v_lshl_add_u64 v[6:7], v[4:5], 3, s[40:41]
	global_load_dwordx2 v[6:7], v[6:7], off
	v_add_u32_e32 v4, s3, v4
	v_cmp_le_u32_e32 vcc, s2, v4
	s_or_b64 s[4:5], vcc, s[4:5]
	s_waitcnt vmcnt(0)
	v_pk_add_f32 v[2:3], v[2:3], v[6:7]
	s_andn2_b64 exec, exec, s[4:5]
	s_cbranch_execnz .LBB89_5
; %bb.6:
	s_or_b64 exec, exec, s[4:5]
.LBB89_7:
	s_or_b64 exec, exec, s[0:1]
	s_waitcnt vmcnt(0)
	v_mov_b32_dpp v4, v2 quad_perm:[1,0,3,2] row_mask:0xf bank_mask:0xf
	v_mov_b32_dpp v5, v3 quad_perm:[1,0,3,2] row_mask:0xf bank_mask:0xf
	v_add_f32_e32 v2, v2, v4
	v_add_f32_e32 v3, v3, v5
	v_mbcnt_lo_u32_b32 v1, -1, 0
	v_mov_b32_dpp v4, v2 quad_perm:[2,3,0,1] row_mask:0xf bank_mask:0xf
	v_mov_b32_dpp v5, v3 quad_perm:[2,3,0,1] row_mask:0xf bank_mask:0xf
	v_add_f32_e32 v2, v2, v4
	v_add_f32_e32 v3, v3, v5
	v_mbcnt_hi_u32_b32 v1, -1, v1
	v_mov_b32_dpp v4, v2 row_ror:4 row_mask:0xf bank_mask:0xf
	v_mov_b32_dpp v5, v3 row_ror:4 row_mask:0xf bank_mask:0xf
	v_add_f32_e32 v2, v2, v4
	v_add_f32_e32 v3, v3, v5
	v_cmp_eq_u32_e64 s[0:1], 0, v1
	v_mov_b32_dpp v4, v2 row_ror:8 row_mask:0xf bank_mask:0xf
	v_mov_b32_dpp v5, v3 row_ror:8 row_mask:0xf bank_mask:0xf
	v_add_f32_e32 v2, v2, v4
	v_add_f32_e32 v3, v3, v5
	s_nop 0
	v_mov_b32_dpp v4, v2 row_bcast:15 row_mask:0xf bank_mask:0xf
	v_mov_b32_dpp v5, v3 row_bcast:15 row_mask:0xf bank_mask:0xf
	v_add_f32_e32 v2, v2, v4
	v_add_f32_e32 v3, v3, v5
	s_nop 0
	v_mov_b32_dpp v4, v2 row_bcast:31 row_mask:0xf bank_mask:0xf
	v_mov_b32_dpp v5, v3 row_bcast:31 row_mask:0xf bank_mask:0xf
	v_add_f32_e32 v2, v2, v4
	v_bfrev_b32_e32 v4, 0.5
	v_add_f32_e32 v3, v3, v5
	v_lshl_or_b32 v4, v1, 2, v4
	ds_bpermute_b32 v32, v4, v2
	ds_bpermute_b32 v33, v4, v3
	s_and_saveexec_b64 s[2:3], s[0:1]
	s_cbranch_execz .LBB89_9
; %bb.8:
	v_lshrrev_b32_e32 v2, 3, v0
	v_and_b32_e32 v2, 0x78, v2
	s_waitcnt lgkmcnt(0)
	ds_write_b64 v2, v[32:33]
.LBB89_9:
	s_or_b64 exec, exec, s[2:3]
	v_cmp_lt_u32_e64 s[2:3], 63, v0
	v_cmp_gt_u32_e64 s[4:5], 64, v0
	v_and_b32_e32 v2, 3, v1
	s_waitcnt lgkmcnt(0)
	s_barrier
	s_and_saveexec_b64 s[6:7], s[4:5]
	s_cbranch_execz .LBB89_11
; %bb.10:
	v_lshlrev_b32_e32 v3, 3, v2
	ds_read_b64 v[4:5], v3
	v_cmp_ne_u32_e32 vcc, 3, v2
	s_nop 1
	v_addc_co_u32_e32 v3, vcc, 0, v1, vcc
	v_lshlrev_b32_e32 v3, 2, v3
	s_waitcnt lgkmcnt(0)
	ds_bpermute_b32 v6, v3, v4
	ds_bpermute_b32 v7, v3, v5
	v_cmp_gt_u32_e32 vcc, 2, v2
	s_waitcnt lgkmcnt(0)
	v_pk_add_f32 v[4:5], v[4:5], v[6:7]
	v_cndmask_b32_e64 v3, 0, 1, vcc
	v_lshlrev_b32_e32 v3, 1, v3
	v_add_lshl_u32 v3, v3, v1, 2
	ds_bpermute_b32 v6, v3, v4
	ds_bpermute_b32 v7, v3, v5
	s_waitcnt lgkmcnt(0)
	v_pk_add_f32 v[32:33], v[4:5], v[6:7]
.LBB89_11:
	s_or_b64 exec, exec, s[6:7]
	s_cmp_gt_i32 s33, 0
	s_barrier
	s_cbranch_scc0 .LBB89_98
; %bb.12:
	v_lshlrev_b32_e32 v3, 4, v0
	s_movk_i32 s6, 0x3c00
	v_and_or_b32 v77, v3, s6, v1
	v_add_u32_e32 v78, 64, v77
	v_lshrrev_b32_e32 v3, 5, v77
	v_or_b32_e32 v79, 0x80, v77
	v_add_lshl_u32 v93, v3, v77, 3
	v_lshrrev_b32_e32 v3, 5, v78
	v_add_u32_e32 v80, 0xc0, v77
	v_add_lshl_u32 v94, v3, v78, 3
	v_lshrrev_b32_e32 v3, 5, v79
	v_or_b32_e32 v81, 0x100, v77
	v_add_lshl_u32 v95, v3, v79, 3
	v_lshrrev_b32_e32 v3, 5, v80
	v_add_u32_e32 v82, 0x140, v77
	v_add_lshl_u32 v96, v3, v80, 3
	;; [unrolled: 6-line block ×7, first 2 shown]
	v_lshrrev_b32_e32 v3, 5, v91
	v_add_lshl_u32 v107, v3, v91, 3
	v_lshrrev_b32_e32 v3, 5, v92
	v_add_lshl_u32 v108, v3, v92, 3
	v_and_b32_e32 v3, 0x3c0, v0
	v_add_u32_e32 v4, v1, v3
	v_lshlrev_b32_e32 v5, 4, v4
	v_bfe_u32 v4, v4, 1, 27
	v_min_u32_e32 v3, 0xc0, v3
	v_add_lshl_u32 v109, v4, v5, 3
	v_and_b32_e32 v4, 15, v1
	v_or_b32_e32 v3, 63, v3
	v_cmp_eq_u32_e64 s[6:7], 0, v4
	v_cmp_lt_u32_e64 s[8:9], 1, v4
	v_cmp_lt_u32_e64 s[10:11], 3, v4
	;; [unrolled: 1-line block ×3, first 2 shown]
	v_and_b32_e32 v4, 16, v1
	v_cmp_eq_u32_e64 s[18:19], v3, v0
	v_cmp_eq_u32_e64 s[22:23], 0, v2
	v_cmp_lt_u32_e64 s[24:25], 1, v2
	v_add_u32_e32 v2, -1, v1
	v_and_b32_e32 v3, 64, v1
	v_cmp_eq_u32_e64 s[14:15], 0, v4
	v_lshrrev_b32_e32 v4, 6, v0
	v_cmp_lt_i32_e32 vcc, v2, v3
	v_mov_b32_e32 v35, 0
	v_cmp_lt_u32_e64 s[16:17], 31, v1
	v_cmp_gt_u32_e64 s[20:21], 4, v0
	v_cndmask_b32_e32 v2, v2, v1, vcc
	v_cmp_eq_u32_e64 s[26:27], 0, v0
	v_lshlrev_b32_e32 v34, 3, v1
	v_lshlrev_b32_e32 v0, 13, v4
	v_mov_b32_e32 v1, v35
	v_lshlrev_b32_e32 v110, 3, v4
	v_lshl_add_u64 v[0:1], s[28:29], 3, v[0:1]
	v_add_u32_e32 v111, -8, v110
	v_lshlrev_b32_e32 v112, 2, v2
	v_lshl_add_u64 v[40:41], s[36:37], 0, v[0:1]
	v_lshl_add_u64 v[42:43], s[38:39], 0, v[0:1]
	v_mov_b64_e32 v[36:37], 0x1000
	v_mov_b64_e32 v[38:39], 0xfff
	s_mov_b64 s[34:35], 0x8000
	s_branch .LBB89_14
.LBB89_13:                              ;   in Loop: Header=BB89_14 Depth=1
	s_add_u32 s30, s30, 0xfffff000
	s_addc_u32 s31, s31, -1
	s_add_i32 s33, s33, -1
	s_cmp_eq_u32 s33, 0
	v_lshl_add_u64 v[40:41], v[40:41], 0, s[34:35]
	v_lshl_add_u64 v[42:43], v[42:43], 0, s[34:35]
	s_cselect_b64 s[28:29], -1, 0
	s_waitcnt lgkmcnt(0)
	s_barrier
	s_andn2_b64 vcc, exec, s[28:29]
	s_cbranch_vccz .LBB89_98
.LBB89_14:                              ; =>This Inner Loop Header: Depth=1
	v_cmp_gt_i64_e32 vcc, s[30:31], v[38:39]
	s_mov_b64 s[36:37], -1
	v_cmp_gt_u32_e64 s[28:29], s30, v77
	s_cbranch_vccnz .LBB89_48
; %bb.15:                               ;   in Loop: Header=BB89_14 Depth=1
	v_lshl_add_u64 v[8:9], v[40:41], 0, v[34:35]
	v_mov_b32_e32 v0, 0
	v_mov_b32_e32 v2, 0
	;; [unrolled: 1-line block ×3, first 2 shown]
	s_and_saveexec_b64 s[36:37], s[28:29]
	s_cbranch_execz .LBB89_17
; %bb.16:                               ;   in Loop: Header=BB89_14 Depth=1
	global_load_dwordx2 v[2:3], v[8:9], off
.LBB89_17:                              ;   in Loop: Header=BB89_14 Depth=1
	s_or_b64 exec, exec, s[36:37]
	v_cmp_gt_u32_e32 vcc, s30, v78
	v_mov_b32_e32 v1, 0
	s_and_saveexec_b64 s[28:29], vcc
	s_cbranch_execz .LBB89_19
; %bb.18:                               ;   in Loop: Header=BB89_14 Depth=1
	global_load_dwordx2 v[0:1], v[8:9], off offset:512
.LBB89_19:                              ;   in Loop: Header=BB89_14 Depth=1
	s_or_b64 exec, exec, s[28:29]
	v_cmp_gt_u32_e32 vcc, s30, v79
	v_mov_b32_e32 v4, 0
	v_mov_b32_e32 v6, 0
	v_mov_b32_e32 v7, 0
	s_and_saveexec_b64 s[28:29], vcc
	s_cbranch_execz .LBB89_21
; %bb.20:                               ;   in Loop: Header=BB89_14 Depth=1
	global_load_dwordx2 v[6:7], v[8:9], off offset:1024
.LBB89_21:                              ;   in Loop: Header=BB89_14 Depth=1
	s_or_b64 exec, exec, s[28:29]
	v_cmp_gt_u32_e32 vcc, s30, v80
	v_mov_b32_e32 v5, 0
	s_and_saveexec_b64 s[28:29], vcc
	s_cbranch_execz .LBB89_23
; %bb.22:                               ;   in Loop: Header=BB89_14 Depth=1
	global_load_dwordx2 v[4:5], v[8:9], off offset:1536
.LBB89_23:                              ;   in Loop: Header=BB89_14 Depth=1
	s_or_b64 exec, exec, s[28:29]
	v_cmp_gt_u32_e32 vcc, s30, v81
	v_mov_b32_e32 v10, 0
	v_mov_b32_e32 v12, 0
	v_mov_b32_e32 v13, 0
	s_and_saveexec_b64 s[28:29], vcc
	s_cbranch_execz .LBB89_25
; %bb.24:                               ;   in Loop: Header=BB89_14 Depth=1
	global_load_dwordx2 v[12:13], v[8:9], off offset:2048
.LBB89_25:                              ;   in Loop: Header=BB89_14 Depth=1
	;; [unrolled: 18-line block ×3, first 2 shown]
	s_or_b64 exec, exec, s[28:29]
	v_cmp_gt_u32_e32 vcc, s30, v84
	v_mov_b32_e32 v15, 0
	s_and_saveexec_b64 s[28:29], vcc
	s_cbranch_execz .LBB89_31
; %bb.30:                               ;   in Loop: Header=BB89_14 Depth=1
	global_load_dwordx2 v[14:15], v[8:9], off offset:3584
.LBB89_31:                              ;   in Loop: Header=BB89_14 Depth=1
	s_or_b64 exec, exec, s[28:29]
	v_cmp_gt_u32_e32 vcc, s30, v85
	v_mov_b32_e32 v18, 0
	v_mov_b32_e32 v20, 0
	v_mov_b32_e32 v21, 0
	s_and_saveexec_b64 s[28:29], vcc
	s_cbranch_execz .LBB89_33
; %bb.32:                               ;   in Loop: Header=BB89_14 Depth=1
	v_add_co_u32_e32 v20, vcc, 0x1000, v8
	s_nop 1
	v_addc_co_u32_e32 v21, vcc, 0, v9, vcc
	global_load_dwordx2 v[20:21], v[20:21], off
.LBB89_33:                              ;   in Loop: Header=BB89_14 Depth=1
	s_or_b64 exec, exec, s[28:29]
	v_cmp_gt_u32_e32 vcc, s30, v86
	v_mov_b32_e32 v19, 0
	s_and_saveexec_b64 s[28:29], vcc
	s_cbranch_execz .LBB89_35
; %bb.34:                               ;   in Loop: Header=BB89_14 Depth=1
	v_add_co_u32_e32 v18, vcc, 0x1000, v8
	s_nop 1
	v_addc_co_u32_e32 v19, vcc, 0, v9, vcc
	global_load_dwordx2 v[18:19], v[18:19], off offset:512
.LBB89_35:                              ;   in Loop: Header=BB89_14 Depth=1
	s_or_b64 exec, exec, s[28:29]
	v_cmp_gt_u32_e32 vcc, s30, v87
	s_waitcnt lgkmcnt(0)
	v_mov_b32_e32 v22, 0
	v_mov_b32_e32 v24, 0
	;; [unrolled: 1-line block ×3, first 2 shown]
	s_and_saveexec_b64 s[28:29], vcc
	s_cbranch_execz .LBB89_37
; %bb.36:                               ;   in Loop: Header=BB89_14 Depth=1
	v_add_co_u32_e32 v24, vcc, 0x1000, v8
	s_nop 1
	v_addc_co_u32_e32 v25, vcc, 0, v9, vcc
	global_load_dwordx2 v[24:25], v[24:25], off offset:1024
.LBB89_37:                              ;   in Loop: Header=BB89_14 Depth=1
	s_or_b64 exec, exec, s[28:29]
	v_cmp_gt_u32_e32 vcc, s30, v88
	v_mov_b32_e32 v23, 0
	s_and_saveexec_b64 s[28:29], vcc
	s_cbranch_execz .LBB89_39
; %bb.38:                               ;   in Loop: Header=BB89_14 Depth=1
	v_add_co_u32_e32 v22, vcc, 0x1000, v8
	s_nop 1
	v_addc_co_u32_e32 v23, vcc, 0, v9, vcc
	global_load_dwordx2 v[22:23], v[22:23], off offset:1536
.LBB89_39:                              ;   in Loop: Header=BB89_14 Depth=1
	s_or_b64 exec, exec, s[28:29]
	v_cmp_gt_u32_e32 vcc, s30, v89
	v_mov_b32_e32 v26, 0
	v_mov_b32_e32 v28, 0
	;; [unrolled: 1-line block ×3, first 2 shown]
	s_and_saveexec_b64 s[28:29], vcc
	s_cbranch_execz .LBB89_41
; %bb.40:                               ;   in Loop: Header=BB89_14 Depth=1
	v_add_co_u32_e32 v28, vcc, 0x1000, v8
	s_nop 1
	v_addc_co_u32_e32 v29, vcc, 0, v9, vcc
	global_load_dwordx2 v[28:29], v[28:29], off offset:2048
.LBB89_41:                              ;   in Loop: Header=BB89_14 Depth=1
	s_or_b64 exec, exec, s[28:29]
	v_cmp_gt_u32_e32 vcc, s30, v90
	v_mov_b32_e32 v27, 0
	s_and_saveexec_b64 s[28:29], vcc
	s_cbranch_execz .LBB89_43
; %bb.42:                               ;   in Loop: Header=BB89_14 Depth=1
	v_add_co_u32_e32 v26, vcc, 0x1000, v8
	s_nop 1
	v_addc_co_u32_e32 v27, vcc, 0, v9, vcc
	global_load_dwordx2 v[26:27], v[26:27], off offset:2560
.LBB89_43:                              ;   in Loop: Header=BB89_14 Depth=1
	s_or_b64 exec, exec, s[28:29]
	v_cmp_gt_u32_e32 vcc, s30, v91
	v_mov_b32_e32 v30, 0
	v_mov_b32_e32 v44, 0
	v_mov_b32_e32 v45, 0
	s_and_saveexec_b64 s[28:29], vcc
	s_cbranch_execz .LBB89_45
; %bb.44:                               ;   in Loop: Header=BB89_14 Depth=1
	v_add_co_u32_e32 v44, vcc, 0x1000, v8
	s_nop 1
	v_addc_co_u32_e32 v45, vcc, 0, v9, vcc
	global_load_dwordx2 v[44:45], v[44:45], off offset:3072
.LBB89_45:                              ;   in Loop: Header=BB89_14 Depth=1
	s_or_b64 exec, exec, s[28:29]
	v_cmp_gt_u32_e32 vcc, s30, v92
	v_mov_b32_e32 v31, 0
	s_and_saveexec_b64 s[28:29], vcc
	s_cbranch_execz .LBB89_47
; %bb.46:                               ;   in Loop: Header=BB89_14 Depth=1
	v_add_co_u32_e32 v8, vcc, 0x1000, v8
	s_nop 1
	v_addc_co_u32_e32 v9, vcc, 0, v9, vcc
	global_load_dwordx2 v[30:31], v[8:9], off offset:3584
.LBB89_47:                              ;   in Loop: Header=BB89_14 Depth=1
	s_or_b64 exec, exec, s[28:29]
	s_mov_b64 s[36:37], 0
	s_waitcnt vmcnt(0)
	ds_write_b64 v93, v[2:3]
	ds_write_b64 v94, v[0:1]
	;; [unrolled: 1-line block ×16, first 2 shown]
	; wave barrier
.LBB89_48:                              ;   in Loop: Header=BB89_14 Depth=1
	s_and_b64 vcc, exec, s[36:37]
	s_cbranch_vccz .LBB89_50
; %bb.49:                               ;   in Loop: Header=BB89_14 Depth=1
	v_lshl_add_u64 v[0:1], v[40:41], 0, v[34:35]
	global_load_dwordx2 v[2:3], v[0:1], off
	global_load_dwordx2 v[4:5], v[0:1], off offset:512
	global_load_dwordx2 v[6:7], v[0:1], off offset:1024
	;; [unrolled: 1-line block ×7, first 2 shown]
	v_add_co_u32_e32 v0, vcc, 0x1000, v0
	s_nop 1
	v_addc_co_u32_e32 v1, vcc, 0, v1, vcc
	global_load_dwordx2 v[18:19], v[0:1], off
	global_load_dwordx2 v[20:21], v[0:1], off offset:512
	s_waitcnt lgkmcnt(0)
	global_load_dwordx2 v[22:23], v[0:1], off offset:1024
	global_load_dwordx2 v[24:25], v[0:1], off offset:1536
	;; [unrolled: 1-line block ×5, first 2 shown]
	s_nop 0
	global_load_dwordx2 v[0:1], v[0:1], off offset:3584
	s_waitcnt vmcnt(15)
	ds_write_b64 v93, v[2:3]
	s_waitcnt vmcnt(14)
	ds_write_b64 v94, v[4:5]
	;; [unrolled: 2-line block ×16, first 2 shown]
	; wave barrier
.LBB89_50:                              ;   in Loop: Header=BB89_14 Depth=1
	ds_read2_b64 v[0:3], v109 offset0:14 offset1:15
	ds_read2_b64 v[4:7], v109 offset0:12 offset1:13
	;; [unrolled: 1-line block ×5, first 2 shown]
	ds_read2_b64 v[28:31], v109 offset1:1
	s_waitcnt lgkmcnt(6)
	ds_read2_b64 v[20:23], v109 offset0:6 offset1:7
	ds_read2_b64 v[24:27], v109 offset0:4 offset1:5
	s_waitcnt lgkmcnt(0)
	s_barrier
	v_pk_add_f32 v[44:45], v[30:31], v[28:29]
	s_nop 0
	v_pk_add_f32 v[44:45], v[44:45], v[16:17]
	s_nop 0
	;; [unrolled: 2-line block ×15, first 2 shown]
	v_mov_b32_dpp v46, v44 row_shr:1 row_mask:0xf bank_mask:0xf
	v_mov_b32_dpp v47, v45 row_shr:1 row_mask:0xf bank_mask:0xf
	v_pk_add_f32 v[46:47], v[44:45], v[46:47]
	s_nop 0
	v_cndmask_b32_e64 v45, v47, v45, s[6:7]
	v_cndmask_b32_e64 v44, v46, v44, s[6:7]
	s_nop 0
	v_mov_b32_dpp v47, v45 row_shr:2 row_mask:0xf bank_mask:0xf
	v_mov_b32_dpp v46, v44 row_shr:2 row_mask:0xf bank_mask:0xf
	v_pk_add_f32 v[46:47], v[44:45], v[46:47]
	s_nop 0
	v_cndmask_b32_e64 v45, v45, v47, s[8:9]
	v_cndmask_b32_e64 v44, v44, v46, s[8:9]
	s_nop 0
	;; [unrolled: 7-line block ×4, first 2 shown]
	v_mov_b32_dpp v47, v45 row_bcast:15 row_mask:0xf bank_mask:0xf
	v_mov_b32_dpp v46, v44 row_bcast:15 row_mask:0xf bank_mask:0xf
	v_pk_add_f32 v[46:47], v[44:45], v[46:47]
	s_nop 0
	v_cndmask_b32_e64 v45, v47, v45, s[14:15]
	v_cndmask_b32_e64 v44, v46, v44, s[14:15]
	s_nop 0
	v_mov_b32_dpp v47, v45 row_bcast:31 row_mask:0xf bank_mask:0xf
	v_mov_b32_dpp v46, v44 row_bcast:31 row_mask:0xf bank_mask:0xf
	v_pk_add_f32 v[46:47], v[44:45], v[46:47]
	s_and_saveexec_b64 s[28:29], s[18:19]
	s_cbranch_execz .LBB89_52
; %bb.51:                               ;   in Loop: Header=BB89_14 Depth=1
	v_cndmask_b32_e64 v49, v45, v47, s[16:17]
	v_cndmask_b32_e64 v48, v44, v46, s[16:17]
	ds_write_b64 v110, v[48:49]
.LBB89_52:                              ;   in Loop: Header=BB89_14 Depth=1
	s_or_b64 exec, exec, s[28:29]
	s_waitcnt lgkmcnt(0)
	s_barrier
	s_and_saveexec_b64 s[28:29], s[20:21]
	s_cbranch_execz .LBB89_54
; %bb.53:                               ;   in Loop: Header=BB89_14 Depth=1
	ds_read_b64 v[48:49], v76
	s_waitcnt lgkmcnt(0)
	s_nop 0
	v_mov_b32_dpp v50, v48 row_shr:1 row_mask:0xf bank_mask:0xf
	v_mov_b32_dpp v51, v49 row_shr:1 row_mask:0xf bank_mask:0xf
	v_pk_add_f32 v[50:51], v[48:49], v[50:51]
	s_nop 0
	v_cndmask_b32_e64 v49, v51, v49, s[22:23]
	v_cndmask_b32_e64 v48, v50, v48, s[22:23]
	s_nop 0
	v_mov_b32_dpp v51, v49 row_shr:2 row_mask:0xf bank_mask:0xf
	v_mov_b32_dpp v50, v48 row_shr:2 row_mask:0xf bank_mask:0xf
	v_pk_add_f32 v[50:51], v[48:49], v[50:51]
	s_nop 0
	v_cndmask_b32_e64 v49, v49, v51, s[24:25]
	v_cndmask_b32_e64 v48, v48, v50, s[24:25]
	ds_write_b64 v76, v[48:49]
.LBB89_54:                              ;   in Loop: Header=BB89_14 Depth=1
	s_or_b64 exec, exec, s[28:29]
	v_cndmask_b32_e64 v47, v45, v47, s[16:17]
	v_cndmask_b32_e64 v46, v44, v46, s[16:17]
	v_mov_b32_e32 v44, 0
	v_mov_b32_e32 v45, 0
	s_waitcnt lgkmcnt(0)
	s_barrier
	s_and_saveexec_b64 s[28:29], s[2:3]
	s_cbranch_execz .LBB89_56
; %bb.55:                               ;   in Loop: Header=BB89_14 Depth=1
	ds_read_b64 v[44:45], v111
	s_waitcnt lgkmcnt(0)
	v_pk_add_f32 v[46:47], v[46:47], v[44:45]
.LBB89_56:                              ;   in Loop: Header=BB89_14 Depth=1
	s_or_b64 exec, exec, s[28:29]
	ds_bpermute_b32 v49, v112, v46
	ds_bpermute_b32 v48, v112, v47
	s_and_saveexec_b64 s[28:29], s[4:5]
	s_cbranch_execz .LBB89_60
; %bb.57:                               ;   in Loop: Header=BB89_14 Depth=1
	ds_read_b64 v[46:47], v35 offset:24
	s_and_saveexec_b64 s[36:37], s[26:27]
	s_cbranch_execz .LBB89_59
; %bb.58:                               ;   in Loop: Header=BB89_14 Depth=1
	ds_write_b64 v35, v[32:33] offset:24
.LBB89_59:                              ;   in Loop: Header=BB89_14 Depth=1
	s_or_b64 exec, exec, s[36:37]
	s_waitcnt lgkmcnt(0)
	v_pk_add_f32 v[32:33], v[32:33], v[46:47]
.LBB89_60:                              ;   in Loop: Header=BB89_14 Depth=1
	s_or_b64 exec, exec, s[28:29]
	s_waitcnt lgkmcnt(0)
	s_barrier
	ds_read_b64 v[46:47], v35 offset:24
	v_cndmask_b32_e64 v44, v49, v44, s[0:1]
	v_cndmask_b32_e64 v45, v48, v45, s[0:1]
	v_pk_add_f32 v[44:45], v[28:29], v[44:45]
	v_cmp_lt_i64_e32 vcc, s[30:31], v[36:37]
	v_cndmask_b32_e64 v29, v45, v29, s[26:27]
	v_cndmask_b32_e64 v28, v44, v28, s[26:27]
	s_waitcnt lgkmcnt(0)
	v_pk_add_f32 v[44:45], v[46:47], v[28:29]
	s_and_b64 vcc, exec, vcc
	v_pk_add_f32 v[46:47], v[30:31], v[44:45]
	s_nop 0
	v_pk_add_f32 v[28:29], v[16:17], v[46:47]
	s_barrier
	v_pk_add_f32 v[30:31], v[18:19], v[28:29]
	s_nop 0
	v_pk_add_f32 v[24:25], v[24:25], v[30:31]
	s_nop 0
	v_pk_add_f32 v[26:27], v[26:27], v[24:25]
	s_nop 0
	v_pk_add_f32 v[18:19], v[20:21], v[26:27]
	s_nop 0
	v_pk_add_f32 v[20:21], v[22:23], v[18:19]
	s_nop 0
	v_pk_add_f32 v[16:17], v[12:13], v[20:21]
	s_nop 0
	v_pk_add_f32 v[14:15], v[14:15], v[16:17]
	s_nop 0
	v_pk_add_f32 v[12:13], v[8:9], v[14:15]
	s_nop 0
	v_pk_add_f32 v[10:11], v[10:11], v[12:13]
	s_nop 0
	v_pk_add_f32 v[8:9], v[4:5], v[10:11]
	s_nop 0
	v_pk_add_f32 v[6:7], v[6:7], v[8:9]
	s_nop 0
	v_pk_add_f32 v[4:5], v[0:1], v[6:7]
	v_lshl_add_u64 v[0:1], v[42:43], 0, v[34:35]
	v_pk_add_f32 v[2:3], v[2:3], v[4:5]
	s_cbranch_vccz .LBB89_83
; %bb.61:                               ;   in Loop: Header=BB89_14 Depth=1
	ds_write2_b64 v109, v[44:45], v[46:47] offset1:1
	ds_write2_b64 v109, v[28:29], v[30:31] offset0:2 offset1:3
	ds_write2_b64 v109, v[24:25], v[26:27] offset0:4 offset1:5
	;; [unrolled: 1-line block ×7, first 2 shown]
	; wave barrier
	ds_read_b64 v[74:75], v94
	ds_read_b64 v[72:73], v95
	ds_read_b64 v[70:71], v96
	ds_read_b64 v[68:69], v97
	ds_read_b64 v[66:67], v98
	ds_read_b64 v[64:65], v99
	ds_read_b64 v[62:63], v100
	ds_read_b64 v[60:61], v101
	ds_read_b64 v[58:59], v102
	ds_read_b64 v[56:57], v103
	ds_read_b64 v[54:55], v104
	ds_read_b64 v[52:53], v105
	ds_read_b64 v[50:51], v106
	ds_read_b64 v[48:49], v107
	ds_read_b64 v[22:23], v108
	v_cmp_gt_u32_e32 vcc, s30, v77
	s_and_saveexec_b64 s[28:29], vcc
	s_cbranch_execnz .LBB89_84
; %bb.62:                               ;   in Loop: Header=BB89_14 Depth=1
	s_or_b64 exec, exec, s[28:29]
	v_cmp_gt_u32_e32 vcc, s30, v78
	s_and_saveexec_b64 s[28:29], vcc
	s_cbranch_execnz .LBB89_85
.LBB89_63:                              ;   in Loop: Header=BB89_14 Depth=1
	s_or_b64 exec, exec, s[28:29]
	v_cmp_gt_u32_e32 vcc, s30, v79
	s_and_saveexec_b64 s[28:29], vcc
	s_cbranch_execnz .LBB89_86
.LBB89_64:                              ;   in Loop: Header=BB89_14 Depth=1
	s_or_b64 exec, exec, s[28:29]
	v_cmp_gt_u32_e32 vcc, s30, v80
	s_and_saveexec_b64 s[28:29], vcc
	s_cbranch_execnz .LBB89_87
.LBB89_65:                              ;   in Loop: Header=BB89_14 Depth=1
	s_or_b64 exec, exec, s[28:29]
	v_cmp_gt_u32_e32 vcc, s30, v81
	s_and_saveexec_b64 s[28:29], vcc
	s_cbranch_execnz .LBB89_88
.LBB89_66:                              ;   in Loop: Header=BB89_14 Depth=1
	s_or_b64 exec, exec, s[28:29]
	v_cmp_gt_u32_e32 vcc, s30, v82
	s_and_saveexec_b64 s[28:29], vcc
	s_cbranch_execnz .LBB89_89
.LBB89_67:                              ;   in Loop: Header=BB89_14 Depth=1
	s_or_b64 exec, exec, s[28:29]
	v_cmp_gt_u32_e32 vcc, s30, v83
	s_and_saveexec_b64 s[28:29], vcc
	s_cbranch_execnz .LBB89_90
.LBB89_68:                              ;   in Loop: Header=BB89_14 Depth=1
	s_or_b64 exec, exec, s[28:29]
	v_cmp_gt_u32_e32 vcc, s30, v84
	s_and_saveexec_b64 s[28:29], vcc
	s_cbranch_execnz .LBB89_91
.LBB89_69:                              ;   in Loop: Header=BB89_14 Depth=1
	s_or_b64 exec, exec, s[28:29]
	v_cmp_gt_u32_e32 vcc, s30, v85
	s_and_saveexec_b64 s[28:29], vcc
	s_cbranch_execnz .LBB89_92
.LBB89_70:                              ;   in Loop: Header=BB89_14 Depth=1
	s_or_b64 exec, exec, s[28:29]
	v_cmp_gt_u32_e32 vcc, s30, v86
	s_and_saveexec_b64 s[28:29], vcc
	s_cbranch_execnz .LBB89_93
.LBB89_71:                              ;   in Loop: Header=BB89_14 Depth=1
	s_or_b64 exec, exec, s[28:29]
	v_cmp_gt_u32_e32 vcc, s30, v87
	s_and_saveexec_b64 s[28:29], vcc
	s_cbranch_execnz .LBB89_94
.LBB89_72:                              ;   in Loop: Header=BB89_14 Depth=1
	s_or_b64 exec, exec, s[28:29]
	v_cmp_gt_u32_e32 vcc, s30, v88
	s_and_saveexec_b64 s[28:29], vcc
	s_cbranch_execnz .LBB89_95
.LBB89_73:                              ;   in Loop: Header=BB89_14 Depth=1
	s_or_b64 exec, exec, s[28:29]
	v_cmp_gt_u32_e32 vcc, s30, v89
	s_and_saveexec_b64 s[28:29], vcc
	s_cbranch_execnz .LBB89_96
.LBB89_74:                              ;   in Loop: Header=BB89_14 Depth=1
	s_or_b64 exec, exec, s[28:29]
	v_cmp_gt_u32_e32 vcc, s30, v90
	s_and_saveexec_b64 s[28:29], vcc
	s_cbranch_execnz .LBB89_97
.LBB89_75:                              ;   in Loop: Header=BB89_14 Depth=1
	s_or_b64 exec, exec, s[28:29]
	v_cmp_gt_u32_e32 vcc, s30, v91
	s_and_saveexec_b64 s[28:29], vcc
	s_cbranch_execz .LBB89_77
.LBB89_76:                              ;   in Loop: Header=BB89_14 Depth=1
	s_waitcnt lgkmcnt(2)
	v_add_co_u32_e32 v50, vcc, 0x1000, v0
	s_nop 1
	v_addc_co_u32_e32 v51, vcc, 0, v1, vcc
	s_waitcnt lgkmcnt(1)
	global_store_dwordx2 v[50:51], v[48:49], off offset:3072
.LBB89_77:                              ;   in Loop: Header=BB89_14 Depth=1
	s_or_b64 exec, exec, s[28:29]
	v_cmp_gt_u32_e64 s[28:29], s30, v92
	s_branch .LBB89_79
.LBB89_78:                              ;   in Loop: Header=BB89_14 Depth=1
	ds_write2_b64 v109, v[44:45], v[46:47] offset1:1
	ds_write2_b64 v109, v[28:29], v[30:31] offset0:2 offset1:3
	ds_write2_b64 v109, v[24:25], v[26:27] offset0:4 offset1:5
	;; [unrolled: 1-line block ×7, first 2 shown]
	; wave barrier
	ds_read_b64 v[2:3], v93
	ds_read_b64 v[4:5], v94
	;; [unrolled: 1-line block ×15, first 2 shown]
	s_waitcnt lgkmcnt(14)
	ds_read_b64 v[22:23], v108
	global_store_dwordx2 v[0:1], v[2:3], off
	s_waitcnt lgkmcnt(14)
	global_store_dwordx2 v[0:1], v[4:5], off offset:512
	s_waitcnt lgkmcnt(13)
	global_store_dwordx2 v[0:1], v[6:7], off offset:1024
	;; [unrolled: 2-line block ×7, first 2 shown]
	v_add_co_u32_e32 v2, vcc, 0x1000, v0
	s_or_b64 s[28:29], s[28:29], exec
	s_nop 0
	v_addc_co_u32_e32 v3, vcc, 0, v1, vcc
	s_waitcnt lgkmcnt(7)
	global_store_dwordx2 v[2:3], v[18:19], off
	s_waitcnt lgkmcnt(6)
	global_store_dwordx2 v[2:3], v[20:21], off offset:512
	s_waitcnt lgkmcnt(5)
	global_store_dwordx2 v[2:3], v[24:25], off offset:1024
	;; [unrolled: 2-line block ×6, first 2 shown]
.LBB89_79:                              ;   in Loop: Header=BB89_14 Depth=1
	s_and_saveexec_b64 s[36:37], s[28:29]
	s_cbranch_execz .LBB89_81
; %bb.80:                               ;   in Loop: Header=BB89_14 Depth=1
	v_add_co_u32_e32 v0, vcc, 0x1000, v0
	s_nop 1
	v_addc_co_u32_e32 v1, vcc, 0, v1, vcc
	s_waitcnt lgkmcnt(0)
	global_store_dwordx2 v[0:1], v[22:23], off offset:3584
.LBB89_81:                              ;   in Loop: Header=BB89_14 Depth=1
	s_or_b64 exec, exec, s[36:37]
	v_mov_b64_e32 v[0:1], 0x1001
	v_cmp_lt_i64_e32 vcc, s[30:31], v[0:1]
	s_cbranch_vccz .LBB89_13
; %bb.82:
                                        ; implicit-def: $vgpr32_vgpr33
                                        ; implicit-def: $sgpr30_sgpr31
                                        ; implicit-def: $sgpr33
                                        ; implicit-def: $vgpr40_vgpr41
                                        ; implicit-def: $vgpr42_vgpr43
	s_branch .LBB89_98
.LBB89_83:                              ;   in Loop: Header=BB89_14 Depth=1
	s_mov_b64 s[28:29], 0
                                        ; implicit-def: $vgpr22_vgpr23
	s_cbranch_execnz .LBB89_78
	s_branch .LBB89_79
.LBB89_84:                              ;   in Loop: Header=BB89_14 Depth=1
	ds_read_b64 v[114:115], v93
	s_waitcnt lgkmcnt(0)
	global_store_dwordx2 v[0:1], v[114:115], off
	s_or_b64 exec, exec, s[28:29]
	v_cmp_gt_u32_e32 vcc, s30, v78
	s_and_saveexec_b64 s[28:29], vcc
	s_cbranch_execz .LBB89_63
.LBB89_85:                              ;   in Loop: Header=BB89_14 Depth=1
	s_waitcnt lgkmcnt(14)
	global_store_dwordx2 v[0:1], v[74:75], off offset:512
	s_or_b64 exec, exec, s[28:29]
	v_cmp_gt_u32_e32 vcc, s30, v79
	s_and_saveexec_b64 s[28:29], vcc
	s_cbranch_execz .LBB89_64
.LBB89_86:                              ;   in Loop: Header=BB89_14 Depth=1
	s_waitcnt lgkmcnt(13)
	global_store_dwordx2 v[0:1], v[72:73], off offset:1024
	s_or_b64 exec, exec, s[28:29]
	v_cmp_gt_u32_e32 vcc, s30, v80
	s_and_saveexec_b64 s[28:29], vcc
	s_cbranch_execz .LBB89_65
.LBB89_87:                              ;   in Loop: Header=BB89_14 Depth=1
	s_waitcnt lgkmcnt(12)
	global_store_dwordx2 v[0:1], v[70:71], off offset:1536
	s_or_b64 exec, exec, s[28:29]
	v_cmp_gt_u32_e32 vcc, s30, v81
	s_and_saveexec_b64 s[28:29], vcc
	s_cbranch_execz .LBB89_66
.LBB89_88:                              ;   in Loop: Header=BB89_14 Depth=1
	s_waitcnt lgkmcnt(11)
	global_store_dwordx2 v[0:1], v[68:69], off offset:2048
	s_or_b64 exec, exec, s[28:29]
	v_cmp_gt_u32_e32 vcc, s30, v82
	s_and_saveexec_b64 s[28:29], vcc
	s_cbranch_execz .LBB89_67
.LBB89_89:                              ;   in Loop: Header=BB89_14 Depth=1
	s_waitcnt lgkmcnt(10)
	global_store_dwordx2 v[0:1], v[66:67], off offset:2560
	s_or_b64 exec, exec, s[28:29]
	v_cmp_gt_u32_e32 vcc, s30, v83
	s_and_saveexec_b64 s[28:29], vcc
	s_cbranch_execz .LBB89_68
.LBB89_90:                              ;   in Loop: Header=BB89_14 Depth=1
	s_waitcnt lgkmcnt(9)
	global_store_dwordx2 v[0:1], v[64:65], off offset:3072
	s_or_b64 exec, exec, s[28:29]
	v_cmp_gt_u32_e32 vcc, s30, v84
	s_and_saveexec_b64 s[28:29], vcc
	s_cbranch_execz .LBB89_69
.LBB89_91:                              ;   in Loop: Header=BB89_14 Depth=1
	s_waitcnt lgkmcnt(8)
	global_store_dwordx2 v[0:1], v[62:63], off offset:3584
	s_or_b64 exec, exec, s[28:29]
	v_cmp_gt_u32_e32 vcc, s30, v85
	s_and_saveexec_b64 s[28:29], vcc
	s_cbranch_execz .LBB89_70
.LBB89_92:                              ;   in Loop: Header=BB89_14 Depth=1
	s_waitcnt lgkmcnt(8)
	v_add_co_u32_e32 v62, vcc, 0x1000, v0
	s_nop 1
	v_addc_co_u32_e32 v63, vcc, 0, v1, vcc
	s_waitcnt lgkmcnt(7)
	global_store_dwordx2 v[62:63], v[60:61], off
	s_or_b64 exec, exec, s[28:29]
	v_cmp_gt_u32_e32 vcc, s30, v86
	s_and_saveexec_b64 s[28:29], vcc
	s_cbranch_execz .LBB89_71
.LBB89_93:                              ;   in Loop: Header=BB89_14 Depth=1
	s_waitcnt lgkmcnt(7)
	v_add_co_u32_e32 v60, vcc, 0x1000, v0
	s_nop 1
	v_addc_co_u32_e32 v61, vcc, 0, v1, vcc
	s_waitcnt lgkmcnt(6)
	global_store_dwordx2 v[60:61], v[58:59], off offset:512
	s_or_b64 exec, exec, s[28:29]
	v_cmp_gt_u32_e32 vcc, s30, v87
	s_and_saveexec_b64 s[28:29], vcc
	s_cbranch_execz .LBB89_72
.LBB89_94:                              ;   in Loop: Header=BB89_14 Depth=1
	s_waitcnt lgkmcnt(6)
	v_add_co_u32_e32 v58, vcc, 0x1000, v0
	s_nop 1
	v_addc_co_u32_e32 v59, vcc, 0, v1, vcc
	s_waitcnt lgkmcnt(5)
	global_store_dwordx2 v[58:59], v[56:57], off offset:1024
	s_or_b64 exec, exec, s[28:29]
	v_cmp_gt_u32_e32 vcc, s30, v88
	s_and_saveexec_b64 s[28:29], vcc
	s_cbranch_execz .LBB89_73
.LBB89_95:                              ;   in Loop: Header=BB89_14 Depth=1
	s_waitcnt lgkmcnt(5)
	v_add_co_u32_e32 v56, vcc, 0x1000, v0
	s_nop 1
	v_addc_co_u32_e32 v57, vcc, 0, v1, vcc
	s_waitcnt lgkmcnt(4)
	global_store_dwordx2 v[56:57], v[54:55], off offset:1536
	s_or_b64 exec, exec, s[28:29]
	v_cmp_gt_u32_e32 vcc, s30, v89
	s_and_saveexec_b64 s[28:29], vcc
	s_cbranch_execz .LBB89_74
.LBB89_96:                              ;   in Loop: Header=BB89_14 Depth=1
	s_waitcnt lgkmcnt(4)
	v_add_co_u32_e32 v54, vcc, 0x1000, v0
	s_nop 1
	v_addc_co_u32_e32 v55, vcc, 0, v1, vcc
	s_waitcnt lgkmcnt(3)
	global_store_dwordx2 v[54:55], v[52:53], off offset:2048
	s_or_b64 exec, exec, s[28:29]
	v_cmp_gt_u32_e32 vcc, s30, v90
	s_and_saveexec_b64 s[28:29], vcc
	s_cbranch_execz .LBB89_75
.LBB89_97:                              ;   in Loop: Header=BB89_14 Depth=1
	s_waitcnt lgkmcnt(3)
	v_add_co_u32_e32 v52, vcc, 0x1000, v0
	s_nop 1
	v_addc_co_u32_e32 v53, vcc, 0, v1, vcc
	s_waitcnt lgkmcnt(2)
	global_store_dwordx2 v[52:53], v[50:51], off offset:2560
	s_or_b64 exec, exec, s[28:29]
	v_cmp_gt_u32_e32 vcc, s30, v91
	s_and_saveexec_b64 s[28:29], vcc
	s_cbranch_execnz .LBB89_76
	s_branch .LBB89_77
.LBB89_98:
	s_endpgm
	.section	.rodata,"a",@progbits
	.p2align	6, 0x0
	.amdhsa_kernel _ZN2at4cuda3cub17final_scan_kernelILi256ELi16EN3c107complexIfEEEEvPKT1_PS6_S9_li
		.amdhsa_group_segment_fixed_size 33792
		.amdhsa_private_segment_fixed_size 0
		.amdhsa_kernarg_size 296
		.amdhsa_user_sgpr_count 2
		.amdhsa_user_sgpr_dispatch_ptr 0
		.amdhsa_user_sgpr_queue_ptr 0
		.amdhsa_user_sgpr_kernarg_segment_ptr 1
		.amdhsa_user_sgpr_dispatch_id 0
		.amdhsa_user_sgpr_kernarg_preload_length 0
		.amdhsa_user_sgpr_kernarg_preload_offset 0
		.amdhsa_user_sgpr_private_segment_size 0
		.amdhsa_uses_dynamic_stack 0
		.amdhsa_enable_private_segment 0
		.amdhsa_system_sgpr_workgroup_id_x 1
		.amdhsa_system_sgpr_workgroup_id_y 0
		.amdhsa_system_sgpr_workgroup_id_z 0
		.amdhsa_system_sgpr_workgroup_info 0
		.amdhsa_system_vgpr_workitem_id 0
		.amdhsa_next_free_vgpr 116
		.amdhsa_next_free_sgpr 44
		.amdhsa_accum_offset 116
		.amdhsa_reserve_vcc 1
		.amdhsa_float_round_mode_32 0
		.amdhsa_float_round_mode_16_64 0
		.amdhsa_float_denorm_mode_32 3
		.amdhsa_float_denorm_mode_16_64 3
		.amdhsa_dx10_clamp 1
		.amdhsa_ieee_mode 1
		.amdhsa_fp16_overflow 0
		.amdhsa_tg_split 0
		.amdhsa_exception_fp_ieee_invalid_op 0
		.amdhsa_exception_fp_denorm_src 0
		.amdhsa_exception_fp_ieee_div_zero 0
		.amdhsa_exception_fp_ieee_overflow 0
		.amdhsa_exception_fp_ieee_underflow 0
		.amdhsa_exception_fp_ieee_inexact 0
		.amdhsa_exception_int_div_zero 0
	.end_amdhsa_kernel
	.section	.text._ZN2at4cuda3cub17final_scan_kernelILi256ELi16EN3c107complexIfEEEEvPKT1_PS6_S9_li,"axG",@progbits,_ZN2at4cuda3cub17final_scan_kernelILi256ELi16EN3c107complexIfEEEEvPKT1_PS6_S9_li,comdat
.Lfunc_end89:
	.size	_ZN2at4cuda3cub17final_scan_kernelILi256ELi16EN3c107complexIfEEEEvPKT1_PS6_S9_li, .Lfunc_end89-_ZN2at4cuda3cub17final_scan_kernelILi256ELi16EN3c107complexIfEEEEvPKT1_PS6_S9_li
                                        ; -- End function
	.section	.AMDGPU.csdata,"",@progbits
; Kernel info:
; codeLenInByte = 4944
; NumSgprs: 50
; NumVgprs: 116
; NumAgprs: 0
; TotalNumVgprs: 116
; ScratchSize: 0
; MemoryBound: 1
; FloatMode: 240
; IeeeMode: 1
; LDSByteSize: 33792 bytes/workgroup (compile time only)
; SGPRBlocks: 6
; VGPRBlocks: 14
; NumSGPRsForWavesPerEU: 50
; NumVGPRsForWavesPerEU: 116
; AccumOffset: 116
; Occupancy: 4
; WaveLimiterHint : 1
; COMPUTE_PGM_RSRC2:SCRATCH_EN: 0
; COMPUTE_PGM_RSRC2:USER_SGPR: 2
; COMPUTE_PGM_RSRC2:TRAP_HANDLER: 0
; COMPUTE_PGM_RSRC2:TGID_X_EN: 1
; COMPUTE_PGM_RSRC2:TGID_Y_EN: 0
; COMPUTE_PGM_RSRC2:TGID_Z_EN: 0
; COMPUTE_PGM_RSRC2:TIDIG_COMP_CNT: 0
; COMPUTE_PGM_RSRC3_GFX90A:ACCUM_OFFSET: 28
; COMPUTE_PGM_RSRC3_GFX90A:TG_SPLIT: 0
	.section	.text._ZN7rocprim17ROCPRIM_304000_NS6detail31init_lookback_scan_state_kernelINS1_19lookback_scan_stateIN3c107complexIfEELb1ELb1EEEEEvT_jjPNS8_10value_typeE,"axG",@progbits,_ZN7rocprim17ROCPRIM_304000_NS6detail31init_lookback_scan_state_kernelINS1_19lookback_scan_stateIN3c107complexIfEELb1ELb1EEEEEvT_jjPNS8_10value_typeE,comdat
	.protected	_ZN7rocprim17ROCPRIM_304000_NS6detail31init_lookback_scan_state_kernelINS1_19lookback_scan_stateIN3c107complexIfEELb1ELb1EEEEEvT_jjPNS8_10value_typeE ; -- Begin function _ZN7rocprim17ROCPRIM_304000_NS6detail31init_lookback_scan_state_kernelINS1_19lookback_scan_stateIN3c107complexIfEELb1ELb1EEEEEvT_jjPNS8_10value_typeE
	.globl	_ZN7rocprim17ROCPRIM_304000_NS6detail31init_lookback_scan_state_kernelINS1_19lookback_scan_stateIN3c107complexIfEELb1ELb1EEEEEvT_jjPNS8_10value_typeE
	.p2align	8
	.type	_ZN7rocprim17ROCPRIM_304000_NS6detail31init_lookback_scan_state_kernelINS1_19lookback_scan_stateIN3c107complexIfEELb1ELb1EEEEEvT_jjPNS8_10value_typeE,@function
_ZN7rocprim17ROCPRIM_304000_NS6detail31init_lookback_scan_state_kernelINS1_19lookback_scan_stateIN3c107complexIfEELb1ELb1EEEEEvT_jjPNS8_10value_typeE: ; @_ZN7rocprim17ROCPRIM_304000_NS6detail31init_lookback_scan_state_kernelINS1_19lookback_scan_stateIN3c107complexIfEELb1ELb1EEEEEvT_jjPNS8_10value_typeE
; %bb.0:
	s_load_dword s3, s[0:1], 0x24
	s_load_dwordx2 s[8:9], s[0:1], 0x10
	s_load_dwordx4 s[4:7], s[0:1], 0x0
	s_waitcnt lgkmcnt(0)
	s_and_b32 s0, s3, 0xffff
	s_mul_i32 s2, s2, s0
	s_cmp_eq_u64 s[8:9], 0
	v_add_u32_e32 v0, s2, v0
	s_cbranch_scc1 .LBB90_10
; %bb.1:
	s_cmp_lt_u32 s7, s6
	s_cselect_b32 s0, s7, 0
	s_mov_b32 s3, 0
	v_cmp_eq_u32_e32 vcc, s0, v0
	s_and_saveexec_b64 s[0:1], vcc
	s_cbranch_execz .LBB90_9
; %bb.2:
	s_add_i32 s2, s7, 64
	s_lshl_b64 s[2:3], s[2:3], 4
	s_add_u32 s12, s4, s2
	s_addc_u32 s13, s5, s3
	v_mov_b64_e32 v[2:3], s[12:13]
	;;#ASMSTART
	global_load_dwordx4 v[2:5], v[2:3] off sc1	
s_waitcnt vmcnt(0)
	;;#ASMEND
	v_mov_b32_e32 v7, 0
	v_and_b32_e32 v6, 0xff, v4
	v_mov_b32_e32 v8, v3
	s_mov_b64 s[10:11], 0
	v_cmp_eq_u64_e32 vcc, 0, v[6:7]
	s_and_saveexec_b64 s[2:3], vcc
	s_cbranch_execz .LBB90_8
; %bb.3:
	s_mov_b32 s7, 1
	v_mov_b64_e32 v[8:9], s[12:13]
.LBB90_4:                               ; =>This Loop Header: Depth=1
                                        ;     Child Loop BB90_5 Depth 2
	s_max_u32 s12, s7, 1
.LBB90_5:                               ;   Parent Loop BB90_4 Depth=1
                                        ; =>  This Inner Loop Header: Depth=2
	s_add_i32 s12, s12, -1
	s_cmp_eq_u32 s12, 0
	s_sleep 1
	s_cbranch_scc0 .LBB90_5
; %bb.6:                                ;   in Loop: Header=BB90_4 Depth=1
	s_cmp_lt_u32 s7, 32
	s_cselect_b64 s[12:13], -1, 0
	s_cmp_lg_u64 s[12:13], 0
	;;#ASMSTART
	global_load_dwordx4 v[2:5], v[8:9] off sc1	
s_waitcnt vmcnt(0)
	;;#ASMEND
	s_addc_u32 s7, s7, 0
	v_and_b32_e32 v6, 0xff, v4
	v_cmp_ne_u64_e32 vcc, 0, v[6:7]
	s_or_b64 s[10:11], vcc, s[10:11]
	s_andn2_b64 exec, exec, s[10:11]
	s_cbranch_execnz .LBB90_4
; %bb.7:
	s_or_b64 exec, exec, s[10:11]
	v_mov_b32_e32 v8, v3
.LBB90_8:
	s_or_b64 exec, exec, s[2:3]
	v_mov_b32_e32 v3, v8
	v_mov_b32_e32 v1, 0
	global_store_dwordx2 v1, v[2:3], s[8:9]
.LBB90_9:
	s_or_b64 exec, exec, s[0:1]
.LBB90_10:
	v_cmp_gt_u32_e32 vcc, s6, v0
	s_and_saveexec_b64 s[0:1], vcc
	s_cbranch_execnz .LBB90_13
; %bb.11:
	s_or_b64 exec, exec, s[0:1]
	v_cmp_gt_u32_e32 vcc, 64, v0
	s_and_saveexec_b64 s[0:1], vcc
	s_cbranch_execnz .LBB90_14
.LBB90_12:
	s_endpgm
.LBB90_13:
	v_add_u32_e32 v2, 64, v0
	v_mov_b32_e32 v3, 0
	v_lshl_add_u64 v[6:7], v[2:3], 4, s[4:5]
	v_mov_b32_e32 v2, v3
	v_mov_b32_e32 v4, v3
	;; [unrolled: 1-line block ×3, first 2 shown]
	global_store_dwordx4 v[6:7], v[2:5], off
	s_or_b64 exec, exec, s[0:1]
	v_cmp_gt_u32_e32 vcc, 64, v0
	s_and_saveexec_b64 s[0:1], vcc
	s_cbranch_execz .LBB90_12
.LBB90_14:
	v_mov_b32_e32 v1, 0
	v_lshl_add_u64 v[4:5], v[0:1], 4, s[4:5]
	v_mov_b32_e32 v2, 0xff
	v_mov_b32_e32 v0, v1
	;; [unrolled: 1-line block ×3, first 2 shown]
	global_store_dwordx4 v[4:5], v[0:3], off
	s_endpgm
	.section	.rodata,"a",@progbits
	.p2align	6, 0x0
	.amdhsa_kernel _ZN7rocprim17ROCPRIM_304000_NS6detail31init_lookback_scan_state_kernelINS1_19lookback_scan_stateIN3c107complexIfEELb1ELb1EEEEEvT_jjPNS8_10value_typeE
		.amdhsa_group_segment_fixed_size 0
		.amdhsa_private_segment_fixed_size 0
		.amdhsa_kernarg_size 280
		.amdhsa_user_sgpr_count 2
		.amdhsa_user_sgpr_dispatch_ptr 0
		.amdhsa_user_sgpr_queue_ptr 0
		.amdhsa_user_sgpr_kernarg_segment_ptr 1
		.amdhsa_user_sgpr_dispatch_id 0
		.amdhsa_user_sgpr_kernarg_preload_length 0
		.amdhsa_user_sgpr_kernarg_preload_offset 0
		.amdhsa_user_sgpr_private_segment_size 0
		.amdhsa_uses_dynamic_stack 0
		.amdhsa_enable_private_segment 0
		.amdhsa_system_sgpr_workgroup_id_x 1
		.amdhsa_system_sgpr_workgroup_id_y 0
		.amdhsa_system_sgpr_workgroup_id_z 0
		.amdhsa_system_sgpr_workgroup_info 0
		.amdhsa_system_vgpr_workitem_id 0
		.amdhsa_next_free_vgpr 10
		.amdhsa_next_free_sgpr 14
		.amdhsa_accum_offset 12
		.amdhsa_reserve_vcc 1
		.amdhsa_float_round_mode_32 0
		.amdhsa_float_round_mode_16_64 0
		.amdhsa_float_denorm_mode_32 3
		.amdhsa_float_denorm_mode_16_64 3
		.amdhsa_dx10_clamp 1
		.amdhsa_ieee_mode 1
		.amdhsa_fp16_overflow 0
		.amdhsa_tg_split 0
		.amdhsa_exception_fp_ieee_invalid_op 0
		.amdhsa_exception_fp_denorm_src 0
		.amdhsa_exception_fp_ieee_div_zero 0
		.amdhsa_exception_fp_ieee_overflow 0
		.amdhsa_exception_fp_ieee_underflow 0
		.amdhsa_exception_fp_ieee_inexact 0
		.amdhsa_exception_int_div_zero 0
	.end_amdhsa_kernel
	.section	.text._ZN7rocprim17ROCPRIM_304000_NS6detail31init_lookback_scan_state_kernelINS1_19lookback_scan_stateIN3c107complexIfEELb1ELb1EEEEEvT_jjPNS8_10value_typeE,"axG",@progbits,_ZN7rocprim17ROCPRIM_304000_NS6detail31init_lookback_scan_state_kernelINS1_19lookback_scan_stateIN3c107complexIfEELb1ELb1EEEEEvT_jjPNS8_10value_typeE,comdat
.Lfunc_end90:
	.size	_ZN7rocprim17ROCPRIM_304000_NS6detail31init_lookback_scan_state_kernelINS1_19lookback_scan_stateIN3c107complexIfEELb1ELb1EEEEEvT_jjPNS8_10value_typeE, .Lfunc_end90-_ZN7rocprim17ROCPRIM_304000_NS6detail31init_lookback_scan_state_kernelINS1_19lookback_scan_stateIN3c107complexIfEELb1ELb1EEEEEvT_jjPNS8_10value_typeE
                                        ; -- End function
	.section	.AMDGPU.csdata,"",@progbits
; Kernel info:
; codeLenInByte = 384
; NumSgprs: 20
; NumVgprs: 10
; NumAgprs: 0
; TotalNumVgprs: 10
; ScratchSize: 0
; MemoryBound: 0
; FloatMode: 240
; IeeeMode: 1
; LDSByteSize: 0 bytes/workgroup (compile time only)
; SGPRBlocks: 2
; VGPRBlocks: 1
; NumSGPRsForWavesPerEU: 20
; NumVGPRsForWavesPerEU: 10
; AccumOffset: 12
; Occupancy: 8
; WaveLimiterHint : 0
; COMPUTE_PGM_RSRC2:SCRATCH_EN: 0
; COMPUTE_PGM_RSRC2:USER_SGPR: 2
; COMPUTE_PGM_RSRC2:TRAP_HANDLER: 0
; COMPUTE_PGM_RSRC2:TGID_X_EN: 1
; COMPUTE_PGM_RSRC2:TGID_Y_EN: 0
; COMPUTE_PGM_RSRC2:TGID_Z_EN: 0
; COMPUTE_PGM_RSRC2:TIDIG_COMP_CNT: 0
; COMPUTE_PGM_RSRC3_GFX90A:ACCUM_OFFSET: 2
; COMPUTE_PGM_RSRC3_GFX90A:TG_SPLIT: 0
	.section	.text._ZN7rocprim17ROCPRIM_304000_NS6detail31init_lookback_scan_state_kernelINS1_19lookback_scan_stateIN3c107complexIfEELb0ELb1EEEEEvT_jjPNS8_10value_typeE,"axG",@progbits,_ZN7rocprim17ROCPRIM_304000_NS6detail31init_lookback_scan_state_kernelINS1_19lookback_scan_stateIN3c107complexIfEELb0ELb1EEEEEvT_jjPNS8_10value_typeE,comdat
	.protected	_ZN7rocprim17ROCPRIM_304000_NS6detail31init_lookback_scan_state_kernelINS1_19lookback_scan_stateIN3c107complexIfEELb0ELb1EEEEEvT_jjPNS8_10value_typeE ; -- Begin function _ZN7rocprim17ROCPRIM_304000_NS6detail31init_lookback_scan_state_kernelINS1_19lookback_scan_stateIN3c107complexIfEELb0ELb1EEEEEvT_jjPNS8_10value_typeE
	.globl	_ZN7rocprim17ROCPRIM_304000_NS6detail31init_lookback_scan_state_kernelINS1_19lookback_scan_stateIN3c107complexIfEELb0ELb1EEEEEvT_jjPNS8_10value_typeE
	.p2align	8
	.type	_ZN7rocprim17ROCPRIM_304000_NS6detail31init_lookback_scan_state_kernelINS1_19lookback_scan_stateIN3c107complexIfEELb0ELb1EEEEEvT_jjPNS8_10value_typeE,@function
_ZN7rocprim17ROCPRIM_304000_NS6detail31init_lookback_scan_state_kernelINS1_19lookback_scan_stateIN3c107complexIfEELb0ELb1EEEEEvT_jjPNS8_10value_typeE: ; @_ZN7rocprim17ROCPRIM_304000_NS6detail31init_lookback_scan_state_kernelINS1_19lookback_scan_stateIN3c107complexIfEELb0ELb1EEEEEvT_jjPNS8_10value_typeE
; %bb.0:
	s_load_dword s3, s[0:1], 0x24
	s_load_dwordx2 s[8:9], s[0:1], 0x10
	s_load_dwordx4 s[4:7], s[0:1], 0x0
	s_waitcnt lgkmcnt(0)
	s_and_b32 s0, s3, 0xffff
	s_mul_i32 s2, s2, s0
	s_cmp_eq_u64 s[8:9], 0
	v_add_u32_e32 v0, s2, v0
	s_cbranch_scc1 .LBB91_8
; %bb.1:
	s_cmp_lt_u32 s7, s6
	s_cselect_b32 s0, s7, 0
	s_mov_b32 s3, 0
	v_cmp_eq_u32_e32 vcc, s0, v0
	s_and_saveexec_b64 s[0:1], vcc
	s_cbranch_execz .LBB91_7
; %bb.2:
	s_add_i32 s2, s7, 64
	s_lshl_b64 s[2:3], s[2:3], 4
	s_add_u32 s12, s4, s2
	s_addc_u32 s13, s5, s3
	v_mov_b64_e32 v[2:3], s[12:13]
	;;#ASMSTART
	global_load_dwordx4 v[2:5], v[2:3] off sc1	
s_waitcnt vmcnt(0)
	;;#ASMEND
	v_mov_b32_e32 v7, 0
	v_and_b32_e32 v6, 0xff, v4
	v_mov_b32_e32 v8, v3
	s_mov_b64 s[10:11], 0
	v_cmp_eq_u64_e32 vcc, 0, v[6:7]
	s_and_saveexec_b64 s[2:3], vcc
	s_cbranch_execz .LBB91_6
; %bb.3:
	v_mov_b64_e32 v[8:9], s[12:13]
.LBB91_4:                               ; =>This Inner Loop Header: Depth=1
	;;#ASMSTART
	global_load_dwordx4 v[2:5], v[8:9] off sc1	
s_waitcnt vmcnt(0)
	;;#ASMEND
	s_nop 0
	v_and_b32_e32 v6, 0xff, v4
	v_cmp_ne_u64_e32 vcc, 0, v[6:7]
	s_or_b64 s[10:11], vcc, s[10:11]
	s_andn2_b64 exec, exec, s[10:11]
	s_cbranch_execnz .LBB91_4
; %bb.5:
	s_or_b64 exec, exec, s[10:11]
	v_mov_b32_e32 v8, v3
.LBB91_6:
	s_or_b64 exec, exec, s[2:3]
	v_mov_b32_e32 v3, v8
	v_mov_b32_e32 v1, 0
	global_store_dwordx2 v1, v[2:3], s[8:9]
.LBB91_7:
	s_or_b64 exec, exec, s[0:1]
.LBB91_8:
	v_cmp_gt_u32_e32 vcc, s6, v0
	s_and_saveexec_b64 s[0:1], vcc
	s_cbranch_execnz .LBB91_11
; %bb.9:
	s_or_b64 exec, exec, s[0:1]
	v_cmp_gt_u32_e32 vcc, 64, v0
	s_and_saveexec_b64 s[0:1], vcc
	s_cbranch_execnz .LBB91_12
.LBB91_10:
	s_endpgm
.LBB91_11:
	v_add_u32_e32 v2, 64, v0
	v_mov_b32_e32 v3, 0
	v_lshl_add_u64 v[6:7], v[2:3], 4, s[4:5]
	v_mov_b32_e32 v2, v3
	v_mov_b32_e32 v4, v3
	;; [unrolled: 1-line block ×3, first 2 shown]
	global_store_dwordx4 v[6:7], v[2:5], off
	s_or_b64 exec, exec, s[0:1]
	v_cmp_gt_u32_e32 vcc, 64, v0
	s_and_saveexec_b64 s[0:1], vcc
	s_cbranch_execz .LBB91_10
.LBB91_12:
	v_mov_b32_e32 v1, 0
	v_lshl_add_u64 v[4:5], v[0:1], 4, s[4:5]
	v_mov_b32_e32 v2, 0xff
	v_mov_b32_e32 v0, v1
	;; [unrolled: 1-line block ×3, first 2 shown]
	global_store_dwordx4 v[4:5], v[0:3], off
	s_endpgm
	.section	.rodata,"a",@progbits
	.p2align	6, 0x0
	.amdhsa_kernel _ZN7rocprim17ROCPRIM_304000_NS6detail31init_lookback_scan_state_kernelINS1_19lookback_scan_stateIN3c107complexIfEELb0ELb1EEEEEvT_jjPNS8_10value_typeE
		.amdhsa_group_segment_fixed_size 0
		.amdhsa_private_segment_fixed_size 0
		.amdhsa_kernarg_size 280
		.amdhsa_user_sgpr_count 2
		.amdhsa_user_sgpr_dispatch_ptr 0
		.amdhsa_user_sgpr_queue_ptr 0
		.amdhsa_user_sgpr_kernarg_segment_ptr 1
		.amdhsa_user_sgpr_dispatch_id 0
		.amdhsa_user_sgpr_kernarg_preload_length 0
		.amdhsa_user_sgpr_kernarg_preload_offset 0
		.amdhsa_user_sgpr_private_segment_size 0
		.amdhsa_uses_dynamic_stack 0
		.amdhsa_enable_private_segment 0
		.amdhsa_system_sgpr_workgroup_id_x 1
		.amdhsa_system_sgpr_workgroup_id_y 0
		.amdhsa_system_sgpr_workgroup_id_z 0
		.amdhsa_system_sgpr_workgroup_info 0
		.amdhsa_system_vgpr_workitem_id 0
		.amdhsa_next_free_vgpr 10
		.amdhsa_next_free_sgpr 14
		.amdhsa_accum_offset 12
		.amdhsa_reserve_vcc 1
		.amdhsa_float_round_mode_32 0
		.amdhsa_float_round_mode_16_64 0
		.amdhsa_float_denorm_mode_32 3
		.amdhsa_float_denorm_mode_16_64 3
		.amdhsa_dx10_clamp 1
		.amdhsa_ieee_mode 1
		.amdhsa_fp16_overflow 0
		.amdhsa_tg_split 0
		.amdhsa_exception_fp_ieee_invalid_op 0
		.amdhsa_exception_fp_denorm_src 0
		.amdhsa_exception_fp_ieee_div_zero 0
		.amdhsa_exception_fp_ieee_overflow 0
		.amdhsa_exception_fp_ieee_underflow 0
		.amdhsa_exception_fp_ieee_inexact 0
		.amdhsa_exception_int_div_zero 0
	.end_amdhsa_kernel
	.section	.text._ZN7rocprim17ROCPRIM_304000_NS6detail31init_lookback_scan_state_kernelINS1_19lookback_scan_stateIN3c107complexIfEELb0ELb1EEEEEvT_jjPNS8_10value_typeE,"axG",@progbits,_ZN7rocprim17ROCPRIM_304000_NS6detail31init_lookback_scan_state_kernelINS1_19lookback_scan_stateIN3c107complexIfEELb0ELb1EEEEEvT_jjPNS8_10value_typeE,comdat
.Lfunc_end91:
	.size	_ZN7rocprim17ROCPRIM_304000_NS6detail31init_lookback_scan_state_kernelINS1_19lookback_scan_stateIN3c107complexIfEELb0ELb1EEEEEvT_jjPNS8_10value_typeE, .Lfunc_end91-_ZN7rocprim17ROCPRIM_304000_NS6detail31init_lookback_scan_state_kernelINS1_19lookback_scan_stateIN3c107complexIfEELb0ELb1EEEEEvT_jjPNS8_10value_typeE
                                        ; -- End function
	.section	.AMDGPU.csdata,"",@progbits
; Kernel info:
; codeLenInByte = 348
; NumSgprs: 20
; NumVgprs: 10
; NumAgprs: 0
; TotalNumVgprs: 10
; ScratchSize: 0
; MemoryBound: 0
; FloatMode: 240
; IeeeMode: 1
; LDSByteSize: 0 bytes/workgroup (compile time only)
; SGPRBlocks: 2
; VGPRBlocks: 1
; NumSGPRsForWavesPerEU: 20
; NumVGPRsForWavesPerEU: 10
; AccumOffset: 12
; Occupancy: 8
; WaveLimiterHint : 0
; COMPUTE_PGM_RSRC2:SCRATCH_EN: 0
; COMPUTE_PGM_RSRC2:USER_SGPR: 2
; COMPUTE_PGM_RSRC2:TRAP_HANDLER: 0
; COMPUTE_PGM_RSRC2:TGID_X_EN: 1
; COMPUTE_PGM_RSRC2:TGID_Y_EN: 0
; COMPUTE_PGM_RSRC2:TGID_Z_EN: 0
; COMPUTE_PGM_RSRC2:TIDIG_COMP_CNT: 0
; COMPUTE_PGM_RSRC3_GFX90A:ACCUM_OFFSET: 2
; COMPUTE_PGM_RSRC3_GFX90A:TG_SPLIT: 0
	.section	.text._ZN7rocprim17ROCPRIM_304000_NS6detail20lookback_scan_kernelILNS1_25lookback_scan_determinismE0ELb0ENS1_19wrapped_scan_configINS0_14default_configEN3c107complexIfEEEEPKS8_PS8_St4plusIS8_ES8_S8_NS1_19lookback_scan_stateIS8_Lb1ELb1EEEEEvT2_T3_mT5_T4_T7_jPT6_SN_bb,"axG",@progbits,_ZN7rocprim17ROCPRIM_304000_NS6detail20lookback_scan_kernelILNS1_25lookback_scan_determinismE0ELb0ENS1_19wrapped_scan_configINS0_14default_configEN3c107complexIfEEEEPKS8_PS8_St4plusIS8_ES8_S8_NS1_19lookback_scan_stateIS8_Lb1ELb1EEEEEvT2_T3_mT5_T4_T7_jPT6_SN_bb,comdat
	.protected	_ZN7rocprim17ROCPRIM_304000_NS6detail20lookback_scan_kernelILNS1_25lookback_scan_determinismE0ELb0ENS1_19wrapped_scan_configINS0_14default_configEN3c107complexIfEEEEPKS8_PS8_St4plusIS8_ES8_S8_NS1_19lookback_scan_stateIS8_Lb1ELb1EEEEEvT2_T3_mT5_T4_T7_jPT6_SN_bb ; -- Begin function _ZN7rocprim17ROCPRIM_304000_NS6detail20lookback_scan_kernelILNS1_25lookback_scan_determinismE0ELb0ENS1_19wrapped_scan_configINS0_14default_configEN3c107complexIfEEEEPKS8_PS8_St4plusIS8_ES8_S8_NS1_19lookback_scan_stateIS8_Lb1ELb1EEEEEvT2_T3_mT5_T4_T7_jPT6_SN_bb
	.globl	_ZN7rocprim17ROCPRIM_304000_NS6detail20lookback_scan_kernelILNS1_25lookback_scan_determinismE0ELb0ENS1_19wrapped_scan_configINS0_14default_configEN3c107complexIfEEEEPKS8_PS8_St4plusIS8_ES8_S8_NS1_19lookback_scan_stateIS8_Lb1ELb1EEEEEvT2_T3_mT5_T4_T7_jPT6_SN_bb
	.p2align	8
	.type	_ZN7rocprim17ROCPRIM_304000_NS6detail20lookback_scan_kernelILNS1_25lookback_scan_determinismE0ELb0ENS1_19wrapped_scan_configINS0_14default_configEN3c107complexIfEEEEPKS8_PS8_St4plusIS8_ES8_S8_NS1_19lookback_scan_stateIS8_Lb1ELb1EEEEEvT2_T3_mT5_T4_T7_jPT6_SN_bb,@function
_ZN7rocprim17ROCPRIM_304000_NS6detail20lookback_scan_kernelILNS1_25lookback_scan_determinismE0ELb0ENS1_19wrapped_scan_configINS0_14default_configEN3c107complexIfEEEEPKS8_PS8_St4plusIS8_ES8_S8_NS1_19lookback_scan_stateIS8_Lb1ELb1EEEEEvT2_T3_mT5_T4_T7_jPT6_SN_bb: ; @_ZN7rocprim17ROCPRIM_304000_NS6detail20lookback_scan_kernelILNS1_25lookback_scan_determinismE0ELb0ENS1_19wrapped_scan_configINS0_14default_configEN3c107complexIfEEEEPKS8_PS8_St4plusIS8_ES8_S8_NS1_19lookback_scan_stateIS8_Lb1ELb1EEEEEvT2_T3_mT5_T4_T7_jPT6_SN_bb
; %bb.0:
	s_endpgm
	.section	.rodata,"a",@progbits
	.p2align	6, 0x0
	.amdhsa_kernel _ZN7rocprim17ROCPRIM_304000_NS6detail20lookback_scan_kernelILNS1_25lookback_scan_determinismE0ELb0ENS1_19wrapped_scan_configINS0_14default_configEN3c107complexIfEEEEPKS8_PS8_St4plusIS8_ES8_S8_NS1_19lookback_scan_stateIS8_Lb1ELb1EEEEEvT2_T3_mT5_T4_T7_jPT6_SN_bb
		.amdhsa_group_segment_fixed_size 0
		.amdhsa_private_segment_fixed_size 0
		.amdhsa_kernarg_size 76
		.amdhsa_user_sgpr_count 2
		.amdhsa_user_sgpr_dispatch_ptr 0
		.amdhsa_user_sgpr_queue_ptr 0
		.amdhsa_user_sgpr_kernarg_segment_ptr 1
		.amdhsa_user_sgpr_dispatch_id 0
		.amdhsa_user_sgpr_kernarg_preload_length 0
		.amdhsa_user_sgpr_kernarg_preload_offset 0
		.amdhsa_user_sgpr_private_segment_size 0
		.amdhsa_uses_dynamic_stack 0
		.amdhsa_enable_private_segment 0
		.amdhsa_system_sgpr_workgroup_id_x 1
		.amdhsa_system_sgpr_workgroup_id_y 0
		.amdhsa_system_sgpr_workgroup_id_z 0
		.amdhsa_system_sgpr_workgroup_info 0
		.amdhsa_system_vgpr_workitem_id 0
		.amdhsa_next_free_vgpr 1
		.amdhsa_next_free_sgpr 0
		.amdhsa_accum_offset 4
		.amdhsa_reserve_vcc 0
		.amdhsa_float_round_mode_32 0
		.amdhsa_float_round_mode_16_64 0
		.amdhsa_float_denorm_mode_32 3
		.amdhsa_float_denorm_mode_16_64 3
		.amdhsa_dx10_clamp 1
		.amdhsa_ieee_mode 1
		.amdhsa_fp16_overflow 0
		.amdhsa_tg_split 0
		.amdhsa_exception_fp_ieee_invalid_op 0
		.amdhsa_exception_fp_denorm_src 0
		.amdhsa_exception_fp_ieee_div_zero 0
		.amdhsa_exception_fp_ieee_overflow 0
		.amdhsa_exception_fp_ieee_underflow 0
		.amdhsa_exception_fp_ieee_inexact 0
		.amdhsa_exception_int_div_zero 0
	.end_amdhsa_kernel
	.section	.text._ZN7rocprim17ROCPRIM_304000_NS6detail20lookback_scan_kernelILNS1_25lookback_scan_determinismE0ELb0ENS1_19wrapped_scan_configINS0_14default_configEN3c107complexIfEEEEPKS8_PS8_St4plusIS8_ES8_S8_NS1_19lookback_scan_stateIS8_Lb1ELb1EEEEEvT2_T3_mT5_T4_T7_jPT6_SN_bb,"axG",@progbits,_ZN7rocprim17ROCPRIM_304000_NS6detail20lookback_scan_kernelILNS1_25lookback_scan_determinismE0ELb0ENS1_19wrapped_scan_configINS0_14default_configEN3c107complexIfEEEEPKS8_PS8_St4plusIS8_ES8_S8_NS1_19lookback_scan_stateIS8_Lb1ELb1EEEEEvT2_T3_mT5_T4_T7_jPT6_SN_bb,comdat
.Lfunc_end92:
	.size	_ZN7rocprim17ROCPRIM_304000_NS6detail20lookback_scan_kernelILNS1_25lookback_scan_determinismE0ELb0ENS1_19wrapped_scan_configINS0_14default_configEN3c107complexIfEEEEPKS8_PS8_St4plusIS8_ES8_S8_NS1_19lookback_scan_stateIS8_Lb1ELb1EEEEEvT2_T3_mT5_T4_T7_jPT6_SN_bb, .Lfunc_end92-_ZN7rocprim17ROCPRIM_304000_NS6detail20lookback_scan_kernelILNS1_25lookback_scan_determinismE0ELb0ENS1_19wrapped_scan_configINS0_14default_configEN3c107complexIfEEEEPKS8_PS8_St4plusIS8_ES8_S8_NS1_19lookback_scan_stateIS8_Lb1ELb1EEEEEvT2_T3_mT5_T4_T7_jPT6_SN_bb
                                        ; -- End function
	.section	.AMDGPU.csdata,"",@progbits
; Kernel info:
; codeLenInByte = 4
; NumSgprs: 6
; NumVgprs: 0
; NumAgprs: 0
; TotalNumVgprs: 0
; ScratchSize: 0
; MemoryBound: 0
; FloatMode: 240
; IeeeMode: 1
; LDSByteSize: 0 bytes/workgroup (compile time only)
; SGPRBlocks: 0
; VGPRBlocks: 0
; NumSGPRsForWavesPerEU: 6
; NumVGPRsForWavesPerEU: 1
; AccumOffset: 4
; Occupancy: 8
; WaveLimiterHint : 0
; COMPUTE_PGM_RSRC2:SCRATCH_EN: 0
; COMPUTE_PGM_RSRC2:USER_SGPR: 2
; COMPUTE_PGM_RSRC2:TRAP_HANDLER: 0
; COMPUTE_PGM_RSRC2:TGID_X_EN: 1
; COMPUTE_PGM_RSRC2:TGID_Y_EN: 0
; COMPUTE_PGM_RSRC2:TGID_Z_EN: 0
; COMPUTE_PGM_RSRC2:TIDIG_COMP_CNT: 0
; COMPUTE_PGM_RSRC3_GFX90A:ACCUM_OFFSET: 0
; COMPUTE_PGM_RSRC3_GFX90A:TG_SPLIT: 0
	.section	.text._ZN7rocprim17ROCPRIM_304000_NS6detail20lookback_scan_kernelILNS1_25lookback_scan_determinismE0ELb0ENS1_19wrapped_scan_configINS0_14default_configEN3c107complexIfEEEEPKS8_PS8_St4plusIS8_ES8_S8_NS1_19lookback_scan_stateIS8_Lb0ELb1EEEEEvT2_T3_mT5_T4_T7_jPT6_SN_bb,"axG",@progbits,_ZN7rocprim17ROCPRIM_304000_NS6detail20lookback_scan_kernelILNS1_25lookback_scan_determinismE0ELb0ENS1_19wrapped_scan_configINS0_14default_configEN3c107complexIfEEEEPKS8_PS8_St4plusIS8_ES8_S8_NS1_19lookback_scan_stateIS8_Lb0ELb1EEEEEvT2_T3_mT5_T4_T7_jPT6_SN_bb,comdat
	.protected	_ZN7rocprim17ROCPRIM_304000_NS6detail20lookback_scan_kernelILNS1_25lookback_scan_determinismE0ELb0ENS1_19wrapped_scan_configINS0_14default_configEN3c107complexIfEEEEPKS8_PS8_St4plusIS8_ES8_S8_NS1_19lookback_scan_stateIS8_Lb0ELb1EEEEEvT2_T3_mT5_T4_T7_jPT6_SN_bb ; -- Begin function _ZN7rocprim17ROCPRIM_304000_NS6detail20lookback_scan_kernelILNS1_25lookback_scan_determinismE0ELb0ENS1_19wrapped_scan_configINS0_14default_configEN3c107complexIfEEEEPKS8_PS8_St4plusIS8_ES8_S8_NS1_19lookback_scan_stateIS8_Lb0ELb1EEEEEvT2_T3_mT5_T4_T7_jPT6_SN_bb
	.globl	_ZN7rocprim17ROCPRIM_304000_NS6detail20lookback_scan_kernelILNS1_25lookback_scan_determinismE0ELb0ENS1_19wrapped_scan_configINS0_14default_configEN3c107complexIfEEEEPKS8_PS8_St4plusIS8_ES8_S8_NS1_19lookback_scan_stateIS8_Lb0ELb1EEEEEvT2_T3_mT5_T4_T7_jPT6_SN_bb
	.p2align	8
	.type	_ZN7rocprim17ROCPRIM_304000_NS6detail20lookback_scan_kernelILNS1_25lookback_scan_determinismE0ELb0ENS1_19wrapped_scan_configINS0_14default_configEN3c107complexIfEEEEPKS8_PS8_St4plusIS8_ES8_S8_NS1_19lookback_scan_stateIS8_Lb0ELb1EEEEEvT2_T3_mT5_T4_T7_jPT6_SN_bb,@function
_ZN7rocprim17ROCPRIM_304000_NS6detail20lookback_scan_kernelILNS1_25lookback_scan_determinismE0ELb0ENS1_19wrapped_scan_configINS0_14default_configEN3c107complexIfEEEEPKS8_PS8_St4plusIS8_ES8_S8_NS1_19lookback_scan_stateIS8_Lb0ELb1EEEEEvT2_T3_mT5_T4_T7_jPT6_SN_bb: ; @_ZN7rocprim17ROCPRIM_304000_NS6detail20lookback_scan_kernelILNS1_25lookback_scan_determinismE0ELb0ENS1_19wrapped_scan_configINS0_14default_configEN3c107complexIfEEEEPKS8_PS8_St4plusIS8_ES8_S8_NS1_19lookback_scan_stateIS8_Lb0ELb1EEEEEvT2_T3_mT5_T4_T7_jPT6_SN_bb
; %bb.0:
	s_load_dword s3, s[0:1], 0x30
	s_load_dwordx4 s[8:11], s[0:1], 0x0
	s_load_dwordx2 s[4:5], s[0:1], 0x10
	s_mov_b32 s7, 0
	s_mul_i32 s6, s2, 0xf00
	s_waitcnt lgkmcnt(0)
	s_add_i32 s3, s3, -1
	s_mul_i32 s12, s3, 0xf00
	s_sub_u32 s22, s4, s12
	s_subb_u32 s23, s5, 0
	s_cmp_lg_u32 s2, s3
	s_cselect_b64 s[12:13], -1, 0
	s_lshl_b64 s[14:15], s[6:7], 3
	s_add_u32 s8, s8, s14
	s_addc_u32 s9, s9, s15
	s_mov_b64 s[4:5], -1
	s_and_b64 vcc, exec, s[12:13]
	v_lshlrev_b32_e32 v48, 3, v0
	s_cbranch_vccz .LBB93_2
; %bb.1:
	v_mov_b32_e32 v49, 0
	v_lshl_add_u64 v[2:3], s[8:9], 0, v[48:49]
	v_add_co_u32_e32 v8, vcc, 0x1000, v2
	global_load_dwordx2 v[4:5], v48, s[8:9]
	global_load_dwordx2 v[6:7], v48, s[8:9] offset:2048
	v_addc_co_u32_e32 v9, vcc, 0, v3, vcc
	v_add_co_u32_e32 v10, vcc, 0x2000, v2
	s_mov_b64 s[4:5], 0
	s_nop 0
	v_addc_co_u32_e32 v11, vcc, 0, v3, vcc
	global_load_dwordx2 v[12:13], v[8:9], off
	global_load_dwordx2 v[14:15], v[8:9], off offset:2048
	global_load_dwordx2 v[16:17], v[10:11], off
	global_load_dwordx2 v[18:19], v[10:11], off offset:2048
	v_add_co_u32_e32 v8, vcc, 0x3000, v2
	s_nop 1
	v_addc_co_u32_e32 v9, vcc, 0, v3, vcc
	v_add_co_u32_e32 v10, vcc, 0x4000, v2
	s_nop 1
	v_addc_co_u32_e32 v11, vcc, 0, v3, vcc
	global_load_dwordx2 v[20:21], v[8:9], off
	global_load_dwordx2 v[22:23], v[8:9], off offset:2048
	global_load_dwordx2 v[24:25], v[10:11], off
	global_load_dwordx2 v[26:27], v[10:11], off offset:2048
	v_add_co_u32_e32 v8, vcc, 0x5000, v2
	s_nop 1
	v_addc_co_u32_e32 v9, vcc, 0, v3, vcc
	v_add_co_u32_e32 v10, vcc, 0x6000, v2
	s_nop 1
	v_addc_co_u32_e32 v11, vcc, 0, v3, vcc
	global_load_dwordx2 v[28:29], v[8:9], off
	global_load_dwordx2 v[30:31], v[8:9], off offset:2048
	global_load_dwordx2 v[32:33], v[10:11], off
	global_load_dwordx2 v[34:35], v[10:11], off offset:2048
	v_add_co_u32_e32 v2, vcc, 0x7000, v2
	s_nop 1
	v_addc_co_u32_e32 v3, vcc, 0, v3, vcc
	global_load_dwordx2 v[2:3], v[2:3], off
	s_waitcnt vmcnt(13)
	ds_write2st64_b64 v48, v[4:5], v[6:7] offset1:4
	s_waitcnt vmcnt(11)
	ds_write2st64_b64 v48, v[12:13], v[14:15] offset0:8 offset1:12
	s_waitcnt vmcnt(9)
	ds_write2st64_b64 v48, v[16:17], v[18:19] offset0:16 offset1:20
	;; [unrolled: 2-line block ×6, first 2 shown]
	s_waitcnt vmcnt(0)
	ds_write_b64 v48, v[2:3] offset:28672
	s_waitcnt lgkmcnt(0)
	s_barrier
.LBB93_2:
	s_andn2_b64 vcc, exec, s[4:5]
	v_cmp_gt_u32_e64 s[4:5], s22, v0
	s_cbranch_vccnz .LBB93_34
; %bb.3:
	s_load_dwordx2 s[6:7], s[8:9], 0x0
	v_mov_b32_e32 v49, 0
	v_lshl_add_u64 v[4:5], s[8:9], 0, v[48:49]
	s_waitcnt lgkmcnt(0)
	v_mov_b64_e32 v[2:3], s[6:7]
	s_and_saveexec_b64 s[8:9], s[4:5]
	s_cbranch_execz .LBB93_5
; %bb.4:
	global_load_dwordx2 v[2:3], v[4:5], off
.LBB93_5:
	s_or_b64 exec, exec, s[8:9]
	v_or_b32_e32 v1, 0x100, v0
	v_cmp_gt_u32_e32 vcc, s22, v1
	v_mov_b64_e32 v[6:7], s[6:7]
	s_and_saveexec_b64 s[4:5], vcc
	s_cbranch_execz .LBB93_7
; %bb.6:
	global_load_dwordx2 v[6:7], v[4:5], off offset:2048
.LBB93_7:
	s_or_b64 exec, exec, s[4:5]
	v_or_b32_e32 v1, 0x200, v0
	v_cmp_gt_u32_e32 vcc, s22, v1
	v_mov_b64_e32 v[8:9], s[6:7]
	s_and_saveexec_b64 s[4:5], vcc
	s_cbranch_execz .LBB93_9
; %bb.8:
	v_add_co_u32_e32 v8, vcc, 0x1000, v4
	s_nop 1
	v_addc_co_u32_e32 v9, vcc, 0, v5, vcc
	global_load_dwordx2 v[8:9], v[8:9], off
.LBB93_9:
	s_or_b64 exec, exec, s[4:5]
	v_or_b32_e32 v1, 0x300, v0
	v_cmp_gt_u32_e32 vcc, s22, v1
	v_mov_b64_e32 v[10:11], s[6:7]
	s_and_saveexec_b64 s[4:5], vcc
	s_cbranch_execz .LBB93_11
; %bb.10:
	v_add_co_u32_e32 v10, vcc, 0x1000, v4
	s_nop 1
	v_addc_co_u32_e32 v11, vcc, 0, v5, vcc
	global_load_dwordx2 v[10:11], v[10:11], off offset:2048
.LBB93_11:
	s_or_b64 exec, exec, s[4:5]
	v_or_b32_e32 v1, 0x400, v0
	v_cmp_gt_u32_e32 vcc, s22, v1
	v_mov_b64_e32 v[12:13], s[6:7]
	s_and_saveexec_b64 s[4:5], vcc
	s_cbranch_execz .LBB93_13
; %bb.12:
	v_add_co_u32_e32 v12, vcc, 0x2000, v4
	s_nop 1
	v_addc_co_u32_e32 v13, vcc, 0, v5, vcc
	global_load_dwordx2 v[12:13], v[12:13], off
.LBB93_13:
	s_or_b64 exec, exec, s[4:5]
	v_or_b32_e32 v1, 0x500, v0
	v_cmp_gt_u32_e32 vcc, s22, v1
	v_mov_b64_e32 v[14:15], s[6:7]
	s_and_saveexec_b64 s[4:5], vcc
	s_cbranch_execz .LBB93_15
; %bb.14:
	v_add_co_u32_e32 v14, vcc, 0x2000, v4
	s_nop 1
	v_addc_co_u32_e32 v15, vcc, 0, v5, vcc
	global_load_dwordx2 v[14:15], v[14:15], off offset:2048
.LBB93_15:
	;; [unrolled: 24-line block ×6, first 2 shown]
	s_or_b64 exec, exec, s[4:5]
	v_or_b32_e32 v1, 0xe00, v0
	v_cmp_gt_u32_e32 vcc, s22, v1
	v_mov_b64_e32 v[32:33], s[6:7]
	s_and_saveexec_b64 s[4:5], vcc
	s_cbranch_execz .LBB93_33
; %bb.32:
	v_add_co_u32_e32 v4, vcc, 0x7000, v4
	s_nop 1
	v_addc_co_u32_e32 v5, vcc, 0, v5, vcc
	global_load_dwordx2 v[32:33], v[4:5], off
.LBB93_33:
	s_or_b64 exec, exec, s[4:5]
	s_waitcnt vmcnt(0)
	ds_write2st64_b64 v48, v[2:3], v[6:7] offset1:4
	ds_write2st64_b64 v48, v[8:9], v[10:11] offset0:8 offset1:12
	ds_write2st64_b64 v48, v[12:13], v[14:15] offset0:16 offset1:20
	;; [unrolled: 1-line block ×6, first 2 shown]
	ds_write_b64 v48, v[32:33] offset:28672
	s_waitcnt lgkmcnt(0)
	s_barrier
.LBB93_34:
	v_mul_u32_u24_e32 v66, 15, v0
	v_lshlrev_b32_e32 v1, 3, v66
	ds_read_b64 v[50:51], v1 offset:112
	ds_read2_b64 v[6:9], v1 offset0:12 offset1:13
	ds_read2_b64 v[10:13], v1 offset0:10 offset1:11
	;; [unrolled: 1-line block ×6, first 2 shown]
	ds_read2_b64 v[2:5], v1 offset1:1
	s_load_dwordx2 s[8:9], s[0:1], 0x28
	s_cmp_lg_u32 s2, 0
	v_lshrrev_b32_e32 v49, 5, v0
	v_cmp_gt_u32_e32 vcc, 64, v0
	s_waitcnt lgkmcnt(0)
	s_barrier
	s_cbranch_scc0 .LBB93_59
; %bb.35:
	v_pk_add_f32 v[30:31], v[4:5], v[2:3]
	s_nop 0
	v_pk_add_f32 v[30:31], v[30:31], v[26:27]
	s_nop 0
	;; [unrolled: 2-line block ×13, first 2 shown]
	v_pk_add_f32 v[38:39], v[50:51], v[30:31]
	v_add_lshl_u32 v30, v49, v0, 3
	ds_write_b64 v30, v[38:39]
	s_waitcnt lgkmcnt(0)
	s_barrier
	s_and_saveexec_b64 s[6:7], vcc
	s_cbranch_execz .LBB93_37
; %bb.36:
	v_lshlrev_b32_e32 v30, 2, v0
	v_lshrrev_b32_e32 v31, 3, v0
	v_add_lshl_u32 v44, v31, v30, 3
	ds_read2_b64 v[30:33], v44 offset1:1
	ds_read2_b64 v[34:37], v44 offset0:2 offset1:3
	v_mbcnt_lo_u32_b32 v40, -1, 0
	v_mbcnt_hi_u32_b32 v45, -1, v40
	v_and_b32_e32 v46, 15, v45
	s_waitcnt lgkmcnt(1)
	v_pk_add_f32 v[40:41], v[30:31], v[32:33]
	v_cmp_eq_u32_e64 s[4:5], 0, v46
	s_waitcnt lgkmcnt(0)
	v_pk_add_f32 v[40:41], v[40:41], v[34:35]
	s_nop 0
	v_pk_add_f32 v[40:41], v[40:41], v[36:37]
	s_nop 1
	v_mov_b32_dpp v42, v40 row_shr:1 row_mask:0xf bank_mask:0xf
	v_mov_b32_dpp v43, v41 row_shr:1 row_mask:0xf bank_mask:0xf
	v_pk_add_f32 v[42:43], v[40:41], v[42:43]
	s_nop 0
	v_cndmask_b32_e64 v41, v43, v41, s[4:5]
	v_cndmask_b32_e64 v40, v42, v40, s[4:5]
	v_cmp_lt_u32_e64 s[4:5], 1, v46
	v_mov_b32_dpp v43, v41 row_shr:2 row_mask:0xf bank_mask:0xf
	v_mov_b32_dpp v42, v40 row_shr:2 row_mask:0xf bank_mask:0xf
	v_pk_add_f32 v[42:43], v[40:41], v[42:43]
	s_nop 0
	v_cndmask_b32_e64 v41, v41, v43, s[4:5]
	v_cndmask_b32_e64 v40, v40, v42, s[4:5]
	v_cmp_lt_u32_e64 s[4:5], 3, v46
	;; [unrolled: 7-line block ×3, first 2 shown]
	v_mov_b32_dpp v43, v41 row_shr:8 row_mask:0xf bank_mask:0xf
	v_mov_b32_dpp v42, v40 row_shr:8 row_mask:0xf bank_mask:0xf
	v_pk_add_f32 v[42:43], v[40:41], v[42:43]
	v_and_b32_e32 v46, 16, v45
	v_cndmask_b32_e64 v41, v41, v43, s[4:5]
	v_cndmask_b32_e64 v40, v40, v42, s[4:5]
	v_cmp_eq_u32_e64 s[4:5], 0, v46
	v_mov_b32_dpp v43, v41 row_bcast:15 row_mask:0xf bank_mask:0xf
	v_mov_b32_dpp v42, v40 row_bcast:15 row_mask:0xf bank_mask:0xf
	v_pk_add_f32 v[42:43], v[40:41], v[42:43]
	s_nop 0
	v_cndmask_b32_e64 v41, v43, v41, s[4:5]
	v_cndmask_b32_e64 v40, v42, v40, s[4:5]
	v_cmp_lt_u32_e64 s[4:5], 31, v45
	v_mov_b32_dpp v43, v41 row_bcast:31 row_mask:0xf bank_mask:0xf
	v_mov_b32_dpp v42, v40 row_bcast:31 row_mask:0xf bank_mask:0xf
	v_add_f32_e32 v43, v41, v43
	v_add_f32_e32 v42, v40, v42
	v_cndmask_b32_e64 v40, v40, v42, s[4:5]
	v_cndmask_b32_e64 v41, v41, v43, s[4:5]
	v_add_u32_e32 v42, -1, v45
	v_and_b32_e32 v43, 64, v45
	v_cmp_lt_i32_e64 s[4:5], v42, v43
	s_nop 1
	v_cndmask_b32_e64 v42, v42, v45, s[4:5]
	v_lshlrev_b32_e32 v42, 2, v42
	ds_bpermute_b32 v40, v42, v40
	ds_bpermute_b32 v41, v42, v41
	v_cmp_eq_u32_e64 s[4:5], 0, v0
	s_waitcnt lgkmcnt(0)
	v_pk_add_f32 v[30:31], v[30:31], v[40:41]
	s_nop 0
	v_cndmask_b32_e64 v31, v31, v39, s[4:5]
	v_cndmask_b32_e64 v30, v30, v38, s[4:5]
	v_pk_add_f32 v[32:33], v[32:33], v[30:31]
	ds_write2_b64 v44, v[30:31], v[32:33] offset1:1
	v_pk_add_f32 v[30:31], v[34:35], v[32:33]
	s_nop 0
	v_pk_add_f32 v[32:33], v[36:37], v[30:31]
	ds_write2_b64 v44, v[30:31], v[32:33] offset0:2 offset1:3
.LBB93_37:
	s_or_b64 exec, exec, s[6:7]
	v_cmp_eq_u32_e64 s[6:7], 0, v0
	v_cmp_ne_u32_e64 s[4:5], 0, v0
	s_waitcnt lgkmcnt(0)
	s_barrier
	s_and_saveexec_b64 s[16:17], s[4:5]
	s_cbranch_execz .LBB93_39
; %bb.38:
	v_add_u32_e32 v30, -1, v0
	v_lshrrev_b32_e32 v31, 5, v30
	v_add_lshl_u32 v30, v31, v30, 3
	ds_read_b64 v[38:39], v30
.LBB93_39:
	s_or_b64 exec, exec, s[16:17]
	s_and_saveexec_b64 s[16:17], vcc
	s_cbranch_execz .LBB93_58
; %bb.40:
	v_mov_b32_e32 v33, 0
	ds_read_b64 v[30:31], v33 offset:2096
	v_mbcnt_lo_u32_b32 v32, -1, 0
	v_mbcnt_hi_u32_b32 v41, -1, v32
	s_mov_b32 s21, 0
	v_cmp_eq_u32_e64 s[4:5], 0, v41
	s_waitcnt lgkmcnt(0)
	v_readfirstlane_b32 s3, v31
	s_and_saveexec_b64 s[18:19], s[4:5]
	s_cbranch_execz .LBB93_42
; %bb.41:
	s_add_i32 s20, s2, 64
	s_lshl_b64 s[24:25], s[20:21], 4
	s_add_u32 s24, s8, s24
	s_addc_u32 s25, s9, s25
	s_and_b32 s27, s3, 0xff000000
	s_mov_b32 s26, s21
	s_and_b32 s29, s3, 0xff0000
	s_mov_b32 s28, s21
	s_or_b64 s[26:27], s[28:29], s[26:27]
	s_and_b32 s29, s3, 0xff00
	s_or_b64 s[26:27], s[26:27], s[28:29]
	s_and_b32 s29, s3, 0xff
	s_or_b64 s[20:21], s[26:27], s[28:29]
	v_mov_b32_e32 v31, s21
	v_mov_b32_e32 v32, 1
	v_mov_b64_e32 v[34:35], s[24:25]
	;;#ASMSTART
	global_store_dwordx4 v[34:35], v[30:33] off sc1	
s_waitcnt vmcnt(0)
	;;#ASMEND
.LBB93_42:
	s_or_b64 exec, exec, s[18:19]
	v_xad_u32 v40, v41, -1, s2
	v_add_u32_e32 v32, 64, v40
	v_lshl_add_u64 v[44:45], v[32:33], 4, s[8:9]
	;;#ASMSTART
	global_load_dwordx4 v[34:37], v[44:45] off sc1	
s_waitcnt vmcnt(0)
	;;#ASMEND
	s_nop 0
	v_mov_b32_e32 v42, v35
	v_cmp_eq_u16_sdwa s[20:21], v36, v33 src0_sel:BYTE_0 src1_sel:DWORD
	s_and_saveexec_b64 s[18:19], s[20:21]
	s_cbranch_execz .LBB93_46
; %bb.43:
	s_mov_b64 s[20:21], 0
	v_mov_b32_e32 v31, 0
.LBB93_44:                              ; =>This Inner Loop Header: Depth=1
	;;#ASMSTART
	global_load_dwordx4 v[34:37], v[44:45] off sc1	
s_waitcnt vmcnt(0)
	;;#ASMEND
	s_nop 0
	v_cmp_ne_u16_sdwa s[24:25], v36, v31 src0_sel:BYTE_0 src1_sel:DWORD
	s_or_b64 s[20:21], s[24:25], s[20:21]
	s_andn2_b64 exec, exec, s[20:21]
	s_cbranch_execnz .LBB93_44
; %bb.45:
	s_or_b64 exec, exec, s[20:21]
	v_mov_b32_e32 v42, v35
.LBB93_46:
	s_or_b64 exec, exec, s[18:19]
	v_and_b32_e32 v46, 63, v41
	v_cmp_ne_u32_e32 vcc, 63, v46
	v_mov_b32_e32 v31, 2
	v_cmp_eq_u16_sdwa s[18:19], v36, v31 src0_sel:BYTE_0 src1_sel:DWORD
	v_addc_co_u32_e32 v44, vcc, 0, v41, vcc
	v_lshlrev_b64 v[32:33], v41, -1
	v_lshlrev_b32_e32 v52, 2, v44
	v_and_b32_e32 v37, s19, v33
	ds_bpermute_b32 v44, v52, v34
	ds_bpermute_b32 v45, v52, v42
	v_or_b32_e32 v37, 0x80000000, v37
	v_and_b32_e32 v43, s18, v32
	v_ffbl_b32_e32 v37, v37
	v_add_u32_e32 v37, 32, v37
	v_ffbl_b32_e32 v43, v43
	v_mov_b32_e32 v35, v42
	v_min_u32_e32 v37, v43, v37
	v_add_u32_e32 v53, 1, v41
	s_waitcnt lgkmcnt(0)
	v_pk_add_f32 v[44:45], v[34:35], v[44:45]
	v_cmp_gt_u32_e32 vcc, v53, v37
	v_add_u32_e32 v55, 2, v41
	v_add_u32_e32 v57, 4, v41
	v_cndmask_b32_e32 v35, v45, v42, vcc
	v_cndmask_b32_e32 v34, v44, v34, vcc
	v_cmp_gt_u32_e32 vcc, 62, v46
	v_add_u32_e32 v59, 8, v41
	v_add_u32_e32 v61, 16, v41
	v_cndmask_b32_e64 v42, 0, 1, vcc
	v_lshlrev_b32_e32 v42, 1, v42
	v_add_lshl_u32 v54, v42, v41, 2
	ds_bpermute_b32 v42, v54, v34
	ds_bpermute_b32 v43, v54, v35
	v_cmp_gt_u32_e32 vcc, v55, v37
	v_add_u32_e32 v63, 32, v41
	s_waitcnt lgkmcnt(0)
	v_pk_add_f32 v[42:43], v[34:35], v[42:43]
	s_nop 0
	v_cndmask_b32_e32 v35, v43, v35, vcc
	v_cndmask_b32_e32 v34, v42, v34, vcc
	v_cmp_gt_u32_e32 vcc, 60, v46
	s_nop 1
	v_cndmask_b32_e64 v42, 0, 1, vcc
	v_lshlrev_b32_e32 v42, 2, v42
	v_add_lshl_u32 v56, v42, v41, 2
	ds_bpermute_b32 v42, v56, v34
	ds_bpermute_b32 v43, v56, v35
	v_cmp_gt_u32_e32 vcc, v57, v37
	s_waitcnt lgkmcnt(0)
	v_pk_add_f32 v[42:43], v[34:35], v[42:43]
	s_nop 0
	v_cndmask_b32_e32 v35, v43, v35, vcc
	v_cndmask_b32_e32 v34, v42, v34, vcc
	v_cmp_gt_u32_e32 vcc, 56, v46
	s_nop 1
	v_cndmask_b32_e64 v42, 0, 1, vcc
	v_lshlrev_b32_e32 v42, 3, v42
	v_add_lshl_u32 v58, v42, v41, 2
	ds_bpermute_b32 v42, v58, v34
	ds_bpermute_b32 v43, v58, v35
	v_cmp_gt_u32_e32 vcc, v59, v37
	;; [unrolled: 13-line block ×4, first 2 shown]
	v_mov_b32_e32 v41, 0
	s_waitcnt lgkmcnt(0)
	v_pk_add_f32 v[42:43], v[34:35], v[42:43]
	s_nop 0
	v_cndmask_b32_e32 v35, v43, v35, vcc
	v_cndmask_b32_e32 v34, v42, v34, vcc
	s_branch .LBB93_48
.LBB93_47:                              ;   in Loop: Header=BB93_48 Depth=1
	s_or_b64 exec, exec, s[18:19]
	v_cmp_eq_u16_sdwa s[18:19], v36, v31 src0_sel:BYTE_0 src1_sel:DWORD
	ds_bpermute_b32 v47, v52, v34
	ds_bpermute_b32 v46, v52, v44
	v_and_b32_e32 v35, s19, v33
	v_or_b32_e32 v35, 0x80000000, v35
	v_and_b32_e32 v37, s18, v32
	v_ffbl_b32_e32 v35, v35
	v_add_u32_e32 v35, 32, v35
	v_ffbl_b32_e32 v37, v37
	v_mov_b32_e32 v45, v34
	v_min_u32_e32 v37, v37, v35
	s_waitcnt lgkmcnt(0)
	v_pk_add_f32 v[46:47], v[44:45], v[46:47]
	v_cmp_gt_u32_e32 vcc, v53, v37
	v_subrev_u32_e32 v40, 64, v40
	s_nop 0
	v_cndmask_b32_e32 v35, v47, v34, vcc
	v_cndmask_b32_e32 v34, v46, v44, vcc
	ds_bpermute_b32 v45, v54, v35
	ds_bpermute_b32 v44, v54, v34
	v_cmp_gt_u32_e32 vcc, v55, v37
	s_waitcnt lgkmcnt(0)
	v_pk_add_f32 v[44:45], v[34:35], v[44:45]
	s_nop 0
	v_cndmask_b32_e32 v35, v45, v35, vcc
	v_cndmask_b32_e32 v34, v44, v34, vcc
	ds_bpermute_b32 v45, v56, v35
	ds_bpermute_b32 v44, v56, v34
	v_cmp_gt_u32_e32 vcc, v57, v37
	s_waitcnt lgkmcnt(0)
	v_pk_add_f32 v[44:45], v[34:35], v[44:45]
	;; [unrolled: 8-line block ×5, first 2 shown]
	s_nop 0
	v_cndmask_b32_e32 v35, v35, v47, vcc
	v_cndmask_b32_e32 v34, v34, v46, vcc
	v_pk_add_f32 v[34:35], v[42:43], v[34:35]
.LBB93_48:                              ; =>This Loop Header: Depth=1
                                        ;     Child Loop BB93_51 Depth 2
	v_cmp_ne_u16_sdwa s[18:19], v36, v31 src0_sel:BYTE_0 src1_sel:DWORD
	v_mov_b64_e32 v[42:43], v[34:35]
	s_nop 0
	v_cndmask_b32_e64 v36, 0, 1, s[18:19]
	;;#ASMSTART
	;;#ASMEND
	s_nop 0
	v_cmp_ne_u32_e32 vcc, 0, v36
	s_cmp_lg_u64 vcc, exec
	s_cbranch_scc1 .LBB93_53
; %bb.49:                               ;   in Loop: Header=BB93_48 Depth=1
	v_lshl_add_u64 v[46:47], v[40:41], 4, s[8:9]
	;;#ASMSTART
	global_load_dwordx4 v[34:37], v[46:47] off sc1	
s_waitcnt vmcnt(0)
	;;#ASMEND
	s_nop 0
	v_mov_b32_e32 v44, v35
	v_cmp_eq_u16_sdwa s[20:21], v36, v41 src0_sel:BYTE_0 src1_sel:DWORD
	s_and_saveexec_b64 s[18:19], s[20:21]
	s_cbranch_execz .LBB93_47
; %bb.50:                               ;   in Loop: Header=BB93_48 Depth=1
	s_mov_b64 s[20:21], 0
.LBB93_51:                              ;   Parent Loop BB93_48 Depth=1
                                        ; =>  This Inner Loop Header: Depth=2
	;;#ASMSTART
	global_load_dwordx4 v[34:37], v[46:47] off sc1	
s_waitcnt vmcnt(0)
	;;#ASMEND
	s_nop 0
	v_cmp_ne_u16_sdwa s[24:25], v36, v41 src0_sel:BYTE_0 src1_sel:DWORD
	s_or_b64 s[20:21], s[24:25], s[20:21]
	s_andn2_b64 exec, exec, s[20:21]
	s_cbranch_execnz .LBB93_51
; %bb.52:                               ;   in Loop: Header=BB93_48 Depth=1
	s_or_b64 exec, exec, s[20:21]
	v_mov_b32_e32 v44, v35
	s_branch .LBB93_47
.LBB93_53:                              ;   in Loop: Header=BB93_48 Depth=1
                                        ; implicit-def: $vgpr34_vgpr35
                                        ; implicit-def: $vgpr36
	s_cbranch_execz .LBB93_48
; %bb.54:
	s_and_saveexec_b64 s[18:19], s[4:5]
	s_cbranch_execz .LBB93_56
; %bb.55:
	v_add_f32_e32 v31, s3, v43
	s_add_i32 s2, s2, 64
	s_mov_b32 s3, 0
	s_lshl_b64 s[2:3], s[2:3], 4
	s_add_u32 s2, s8, s2
	v_and_b32_e32 v32, 0xff000000, v31
	v_and_b32_e32 v34, 0xff0000, v31
	s_addc_u32 s3, s9, s3
	v_or_b32_e32 v32, v34, v32
	v_and_b32_e32 v34, 0xff00, v31
	v_and_b32_e32 v31, 0xff, v31
	v_add_f32_e32 v30, v42, v30
	v_mov_b32_e32 v33, 0
	v_or3_b32 v31, v32, v34, v31
	v_mov_b32_e32 v32, 2
	v_mov_b64_e32 v[34:35], s[2:3]
	;;#ASMSTART
	global_store_dwordx4 v[34:35], v[30:33] off sc1	
s_waitcnt vmcnt(0)
	;;#ASMEND
.LBB93_56:
	s_or_b64 exec, exec, s[18:19]
	s_and_b64 exec, exec, s[6:7]
	s_cbranch_execz .LBB93_58
; %bb.57:
	v_mov_b32_e32 v30, 0
	ds_write_b64 v30, v[42:43]
.LBB93_58:
	s_or_b64 exec, exec, s[16:17]
	v_mov_b32_e32 v30, 0
	s_waitcnt lgkmcnt(0)
	s_barrier
	ds_read_b64 v[30:31], v30
	v_pk_add_f32 v[32:33], v[2:3], v[38:39]
	s_nop 0
	v_cndmask_b32_e64 v33, v33, v3, s[6:7]
	v_cndmask_b32_e64 v32, v32, v2, s[6:7]
	s_waitcnt lgkmcnt(0)
	v_pk_add_f32 v[64:65], v[32:33], v[30:31]
	s_nop 0
	v_pk_add_f32 v[46:47], v[64:65], v[4:5]
	s_nop 0
	;; [unrolled: 2-line block ×13, first 2 shown]
	v_pk_add_f32 v[32:33], v[52:53], v[8:9]
	s_load_dwordx4 s[4:7], s[0:1], 0x38
	s_branch .LBB93_69
.LBB93_59:
                                        ; implicit-def: $vgpr34_vgpr35_vgpr36_vgpr37
                                        ; implicit-def: $vgpr36_vgpr37_vgpr38_vgpr39
                                        ; implicit-def: $vgpr64_vgpr65
                                        ; implicit-def: $vgpr52_vgpr53
                                        ; implicit-def: $vgpr54_vgpr55
                                        ; implicit-def: $vgpr56_vgpr57
                                        ; implicit-def: $vgpr58_vgpr59
                                        ; implicit-def: $vgpr60_vgpr61
                                        ; implicit-def: $vgpr62_vgpr63
                                        ; implicit-def: $vgpr30_vgpr31_vgpr32_vgpr33
                                        ; implicit-def: $vgpr38_vgpr39_vgpr40_vgpr41
                                        ; implicit-def: $vgpr40_vgpr41_vgpr42_vgpr43
                                        ; implicit-def: $vgpr42_vgpr43_vgpr44_vgpr45
                                        ; implicit-def: $vgpr44_vgpr45_vgpr46_vgpr47
	s_load_dwordx4 s[4:7], s[0:1], 0x38
	s_cbranch_execz .LBB93_69
; %bb.60:
	s_load_dword s16, s[0:1], 0x48
	v_cmp_eq_u32_e32 vcc, 0, v0
	v_cmp_ne_u32_e64 s[2:3], 0, v0
	s_waitcnt lgkmcnt(0)
	s_bitcmp1_b32 s16, 0
	s_cselect_b64 s[16:17], -1, 0
	s_and_b64 s[18:19], vcc, s[16:17]
	s_and_saveexec_b64 s[16:17], s[18:19]
	s_cbranch_execz .LBB93_62
; %bb.61:
	s_load_dwordx2 s[4:5], s[4:5], 0x0
	s_waitcnt lgkmcnt(0)
	v_pk_add_f32 v[2:3], v[2:3], s[4:5]
.LBB93_62:
	s_or_b64 exec, exec, s[16:17]
	v_pk_add_f32 v[46:47], v[4:5], v[2:3]
	v_add_lshl_u32 v44, v49, v0, 3
	v_pk_add_f32 v[42:43], v[46:47], v[26:27]
	v_cmp_gt_u32_e64 s[4:5], 64, v0
	v_pk_add_f32 v[62:63], v[42:43], v[28:29]
	s_nop 0
	v_pk_add_f32 v[40:41], v[62:63], v[22:23]
	s_nop 0
	;; [unrolled: 2-line block ×11, first 2 shown]
	v_pk_add_f32 v[30:31], v[50:51], v[32:33]
	ds_write_b64 v44, v[30:31]
	s_waitcnt lgkmcnt(0)
	s_barrier
	s_and_saveexec_b64 s[16:17], s[4:5]
	s_cbranch_execz .LBB93_64
; %bb.63:
	v_lshlrev_b32_e32 v44, 2, v0
	v_lshrrev_b32_e32 v45, 3, v0
	v_add_lshl_u32 v49, v45, v44, 3
	ds_read2_b64 v[68:71], v49 offset1:1
	ds_read2_b64 v[72:75], v49 offset0:2 offset1:3
	v_mbcnt_lo_u32_b32 v44, -1, 0
	v_mbcnt_hi_u32_b32 v67, -1, v44
	v_and_b32_e32 v76, 15, v67
	s_waitcnt lgkmcnt(1)
	v_pk_add_f32 v[44:45], v[68:69], v[70:71]
	v_cmp_eq_u32_e64 s[4:5], 0, v76
	s_waitcnt lgkmcnt(0)
	v_pk_add_f32 v[44:45], v[44:45], v[72:73]
	s_nop 0
	v_pk_add_f32 v[44:45], v[44:45], v[74:75]
	s_nop 1
	v_mov_b32_dpp v64, v44 row_shr:1 row_mask:0xf bank_mask:0xf
	v_mov_b32_dpp v65, v45 row_shr:1 row_mask:0xf bank_mask:0xf
	v_pk_add_f32 v[64:65], v[44:45], v[64:65]
	s_nop 0
	v_cndmask_b32_e64 v45, v65, v45, s[4:5]
	v_cndmask_b32_e64 v44, v64, v44, s[4:5]
	v_cmp_lt_u32_e64 s[4:5], 1, v76
	v_mov_b32_dpp v65, v45 row_shr:2 row_mask:0xf bank_mask:0xf
	v_mov_b32_dpp v64, v44 row_shr:2 row_mask:0xf bank_mask:0xf
	v_pk_add_f32 v[64:65], v[44:45], v[64:65]
	s_nop 0
	v_cndmask_b32_e64 v45, v45, v65, s[4:5]
	v_cndmask_b32_e64 v44, v44, v64, s[4:5]
	v_cmp_lt_u32_e64 s[4:5], 3, v76
	;; [unrolled: 7-line block ×3, first 2 shown]
	v_mov_b32_dpp v65, v45 row_shr:8 row_mask:0xf bank_mask:0xf
	v_mov_b32_dpp v64, v44 row_shr:8 row_mask:0xf bank_mask:0xf
	v_pk_add_f32 v[64:65], v[44:45], v[64:65]
	v_and_b32_e32 v76, 16, v67
	v_cndmask_b32_e64 v45, v45, v65, s[4:5]
	v_cndmask_b32_e64 v44, v44, v64, s[4:5]
	v_cmp_eq_u32_e64 s[4:5], 0, v76
	v_mov_b32_dpp v65, v45 row_bcast:15 row_mask:0xf bank_mask:0xf
	v_mov_b32_dpp v64, v44 row_bcast:15 row_mask:0xf bank_mask:0xf
	v_pk_add_f32 v[64:65], v[44:45], v[64:65]
	s_nop 0
	v_cndmask_b32_e64 v45, v65, v45, s[4:5]
	v_cndmask_b32_e64 v44, v64, v44, s[4:5]
	v_cmp_lt_u32_e64 s[4:5], 31, v67
	v_mov_b32_dpp v65, v45 row_bcast:31 row_mask:0xf bank_mask:0xf
	v_mov_b32_dpp v64, v44 row_bcast:31 row_mask:0xf bank_mask:0xf
	v_add_f32_e32 v65, v45, v65
	v_add_f32_e32 v64, v44, v64
	v_cndmask_b32_e64 v44, v44, v64, s[4:5]
	v_cndmask_b32_e64 v45, v45, v65, s[4:5]
	v_add_u32_e32 v64, -1, v67
	v_and_b32_e32 v65, 64, v67
	v_cmp_lt_i32_e64 s[4:5], v64, v65
	s_nop 1
	v_cndmask_b32_e64 v64, v64, v67, s[4:5]
	v_lshlrev_b32_e32 v64, 2, v64
	ds_bpermute_b32 v44, v64, v44
	ds_bpermute_b32 v45, v64, v45
	s_waitcnt lgkmcnt(0)
	v_pk_add_f32 v[44:45], v[68:69], v[44:45]
	s_nop 0
	v_cndmask_b32_e32 v45, v45, v31, vcc
	v_cndmask_b32_e32 v44, v44, v30, vcc
	v_pk_add_f32 v[64:65], v[70:71], v[44:45]
	ds_write2_b64 v49, v[44:45], v[64:65] offset1:1
	v_pk_add_f32 v[44:45], v[72:73], v[64:65]
	s_nop 0
	v_pk_add_f32 v[64:65], v[74:75], v[44:45]
	ds_write2_b64 v49, v[44:45], v[64:65] offset0:2 offset1:3
.LBB93_64:
	s_or_b64 exec, exec, s[16:17]
	s_waitcnt lgkmcnt(0)
	s_barrier
	s_and_saveexec_b64 s[4:5], s[2:3]
	s_cbranch_execnz .LBB93_158
; %bb.65:
	s_or_b64 exec, exec, s[4:5]
	s_and_saveexec_b64 s[4:5], s[2:3]
	s_cbranch_execnz .LBB93_159
.LBB93_66:
	s_or_b64 exec, exec, s[4:5]
	s_and_saveexec_b64 s[2:3], vcc
	s_cbranch_execz .LBB93_68
.LBB93_67:
	v_mov_b32_e32 v7, 0
	ds_read_b64 v[4:5], v7 offset:2096
	s_add_u32 s4, s8, 0x400
	s_mov_b32 s8, 0
	s_addc_u32 s5, s9, 0
	s_mov_b32 s16, s8
	s_waitcnt lgkmcnt(0)
	v_readfirstlane_b32 s18, v5
	s_and_b32 s9, s18, 0xff000000
	s_and_b32 s17, s18, 0xff0000
	s_or_b64 s[16:17], s[16:17], s[8:9]
	s_and_b32 s9, s18, 0xff00
	s_or_b64 s[16:17], s[16:17], s[8:9]
	s_and_b32 s9, s18, 0xff
	s_or_b64 s[8:9], s[16:17], s[8:9]
	v_mov_b32_e32 v5, s9
	v_mov_b32_e32 v6, 2
	v_mov_b64_e32 v[8:9], s[4:5]
	;;#ASMSTART
	global_store_dwordx4 v[8:9], v[4:7] off sc1	
s_waitcnt vmcnt(0)
	;;#ASMEND
.LBB93_68:
	s_or_b64 exec, exec, s[2:3]
	v_mov_b64_e32 v[64:65], v[2:3]
.LBB93_69:
	s_add_u32 s2, s10, s14
	v_pk_add_f32 v[2:3], v[50:51], v[32:33]
	s_addc_u32 s3, s11, s15
	s_waitcnt lgkmcnt(0)
	s_mov_b64 s[4:5], -1
	s_and_b64 vcc, exec, s[12:13]
	s_barrier
	s_cbranch_vccz .LBB93_71
; %bb.70:
	v_mul_u32_u24_e32 v4, 0x78, v0
	s_movk_i32 s4, 0x78
	ds_write2_b64 v4, v[64:65], v[46:47] offset1:1
	ds_write2_b64 v4, v[42:43], v[62:63] offset0:2 offset1:3
	ds_write2_b64 v4, v[40:41], v[60:61] offset0:4 offset1:5
	;; [unrolled: 1-line block ×6, first 2 shown]
	ds_write_b64 v4, v[2:3] offset:112
	v_mul_i32_i24_e32 v4, 0xffffff90, v0
	v_mad_u32_u24 v44, v0, s4, v4
	v_mov_b32_e32 v49, 0
	s_waitcnt lgkmcnt(0)
	s_barrier
	ds_read2st64_b64 v[4:7], v44 offset1:4
	ds_read2st64_b64 v[8:11], v44 offset0:8 offset1:12
	ds_read2st64_b64 v[12:15], v44 offset0:16 offset1:20
	;; [unrolled: 1-line block ×6, first 2 shown]
	ds_read_b64 v[44:45], v44 offset:28672
	v_lshl_add_u64 v[50:51], s[2:3], 0, v[48:49]
	s_movk_i32 s4, 0x1000
	s_waitcnt lgkmcnt(7)
	global_store_dwordx2 v48, v[4:5], s[2:3]
	global_store_dwordx2 v48, v[6:7], s[2:3] offset:2048
	v_add_co_u32_e32 v4, vcc, s4, v50
	s_movk_i32 s4, 0x2000
	s_nop 0
	v_addc_co_u32_e32 v5, vcc, 0, v51, vcc
	v_add_co_u32_e32 v6, vcc, s4, v50
	s_movk_i32 s4, 0x3000
	s_nop 0
	v_addc_co_u32_e32 v7, vcc, 0, v51, vcc
	s_waitcnt lgkmcnt(6)
	global_store_dwordx2 v[6:7], v[8:9], off offset:-4096
	global_store_dwordx2 v[4:5], v[10:11], off offset:2048
	s_waitcnt lgkmcnt(5)
	global_store_dwordx2 v[6:7], v[12:13], off
	global_store_dwordx2 v[6:7], v[14:15], off offset:2048
	v_add_co_u32_e32 v4, vcc, s4, v50
	s_movk_i32 s4, 0x4000
	s_nop 0
	v_addc_co_u32_e32 v5, vcc, 0, v51, vcc
	v_add_co_u32_e32 v6, vcc, s4, v50
	s_movk_i32 s4, 0x5000
	s_nop 0
	v_addc_co_u32_e32 v7, vcc, 0, v51, vcc
	s_waitcnt lgkmcnt(4)
	global_store_dwordx2 v[6:7], v[16:17], off offset:-4096
	global_store_dwordx2 v[4:5], v[18:19], off offset:2048
	s_waitcnt lgkmcnt(3)
	global_store_dwordx2 v[6:7], v[20:21], off
	global_store_dwordx2 v[6:7], v[22:23], off offset:2048
	v_add_co_u32_e32 v4, vcc, s4, v50
	s_mov_b64 s[4:5], 0
	s_nop 0
	v_addc_co_u32_e32 v5, vcc, 0, v51, vcc
	s_waitcnt lgkmcnt(2)
	global_store_dwordx2 v[4:5], v[24:25], off
	global_store_dwordx2 v[4:5], v[26:27], off offset:2048
	v_add_co_u32_e32 v4, vcc, 0x6000, v50
	s_nop 1
	v_addc_co_u32_e32 v5, vcc, 0, v51, vcc
	s_waitcnt lgkmcnt(1)
	global_store_dwordx2 v[4:5], v[28:29], off
	global_store_dwordx2 v[4:5], v[30:31], off offset:2048
	v_add_co_u32_e32 v4, vcc, 0x7000, v50
	s_nop 1
	v_addc_co_u32_e32 v5, vcc, 0, v51, vcc
	s_waitcnt lgkmcnt(0)
	global_store_dwordx2 v[4:5], v[44:45], off
.LBB93_71:
	s_andn2_b64 vcc, exec, s[4:5]
	s_cbranch_vccnz .LBB93_157
; %bb.72:
	s_movk_i32 s4, 0xff90
	ds_write2_b64 v1, v[64:65], v[46:47] offset1:1
	ds_write2_b64 v1, v[42:43], v[62:63] offset0:2 offset1:3
	ds_write2_b64 v1, v[40:41], v[60:61] offset0:4 offset1:5
	;; [unrolled: 1-line block ×6, first 2 shown]
	ds_write_b64 v1, v[2:3] offset:112
	v_mad_i32_i24 v1, v0, s4, v1
	s_waitcnt lgkmcnt(0)
	s_barrier
	ds_read2st64_b64 v[6:9], v1 offset1:4
	ds_read2st64_b64 v[14:17], v1 offset0:8 offset1:12
	ds_read2st64_b64 v[10:13], v1 offset0:16 offset1:20
	;; [unrolled: 1-line block ×6, first 2 shown]
	ds_read_b64 v[30:31], v1 offset:28672
	v_mov_b32_e32 v49, 0
	v_lshl_add_u64 v[32:33], s[2:3], 0, v[48:49]
	v_cmp_gt_u32_e32 vcc, s22, v0
	s_and_saveexec_b64 s[2:3], vcc
	s_cbranch_execz .LBB93_74
; %bb.73:
	s_waitcnt lgkmcnt(7)
	global_store_dwordx2 v[32:33], v[6:7], off
.LBB93_74:
	s_or_b64 exec, exec, s[2:3]
	v_or_b32_e32 v1, 0x100, v0
	v_cmp_gt_u32_e32 vcc, s22, v1
	s_and_saveexec_b64 s[2:3], vcc
	s_cbranch_execz .LBB93_76
; %bb.75:
	s_waitcnt lgkmcnt(7)
	global_store_dwordx2 v[32:33], v[8:9], off offset:2048
.LBB93_76:
	s_or_b64 exec, exec, s[2:3]
	v_or_b32_e32 v1, 0x200, v0
	v_cmp_gt_u32_e32 vcc, s22, v1
	s_and_saveexec_b64 s[2:3], vcc
	s_cbranch_execz .LBB93_78
; %bb.77:
	v_add_co_u32_e32 v34, vcc, 0x1000, v32
	s_nop 1
	v_addc_co_u32_e32 v35, vcc, 0, v33, vcc
	s_waitcnt lgkmcnt(6)
	global_store_dwordx2 v[34:35], v[14:15], off
.LBB93_78:
	s_or_b64 exec, exec, s[2:3]
	v_or_b32_e32 v1, 0x300, v0
	v_cmp_gt_u32_e32 vcc, s22, v1
	s_and_saveexec_b64 s[2:3], vcc
	s_cbranch_execz .LBB93_80
; %bb.79:
	v_add_co_u32_e32 v34, vcc, 0x1000, v32
	s_nop 1
	v_addc_co_u32_e32 v35, vcc, 0, v33, vcc
	s_waitcnt lgkmcnt(6)
	global_store_dwordx2 v[34:35], v[16:17], off offset:2048
.LBB93_80:
	s_or_b64 exec, exec, s[2:3]
	v_or_b32_e32 v1, 0x400, v0
	v_cmp_gt_u32_e32 vcc, s22, v1
	s_and_saveexec_b64 s[2:3], vcc
	s_cbranch_execz .LBB93_82
; %bb.81:
	v_add_co_u32_e32 v34, vcc, 0x2000, v32
	s_nop 1
	v_addc_co_u32_e32 v35, vcc, 0, v33, vcc
	s_waitcnt lgkmcnt(5)
	global_store_dwordx2 v[34:35], v[10:11], off
.LBB93_82:
	s_or_b64 exec, exec, s[2:3]
	v_or_b32_e32 v1, 0x500, v0
	v_cmp_gt_u32_e32 vcc, s22, v1
	s_and_saveexec_b64 s[2:3], vcc
	s_cbranch_execz .LBB93_84
; %bb.83:
	v_add_co_u32_e32 v34, vcc, 0x2000, v32
	s_nop 1
	v_addc_co_u32_e32 v35, vcc, 0, v33, vcc
	s_waitcnt lgkmcnt(5)
	global_store_dwordx2 v[34:35], v[12:13], off offset:2048
.LBB93_84:
	;; [unrolled: 24-line block ×6, first 2 shown]
	s_or_b64 exec, exec, s[2:3]
	v_or_b32_e32 v1, 0xe00, v0
	v_cmp_gt_u32_e32 vcc, s22, v1
	s_and_saveexec_b64 s[2:3], vcc
	s_cbranch_execz .LBB93_102
; %bb.101:
	v_add_co_u32_e32 v32, vcc, 0x7000, v32
	s_nop 1
	v_addc_co_u32_e32 v33, vcc, 0, v33, vcc
	s_waitcnt lgkmcnt(0)
	global_store_dwordx2 v[32:33], v[30:31], off
.LBB93_102:
	s_or_b64 exec, exec, s[2:3]
	s_load_dword s0, s[0:1], 0x48
	s_waitcnt lgkmcnt(0)
	s_bfe_u32 s0, s0, 0x10008
	s_cmp_eq_u32 s0, 0
	s_cbranch_scc1 .LBB93_157
; %bb.103:
	s_add_u32 s0, s22, -1
	s_addc_u32 s1, s23, -1
	s_add_u32 s2, 0, 0x11108400
	s_addc_u32 s3, 0, 49
	s_add_i32 s3, s3, 0x111110e0
	s_mul_hi_u32 s9, s2, -15
	s_sub_i32 s9, s9, s2
	s_mul_i32 s10, s3, -15
	s_mul_i32 s4, s2, -15
	s_add_i32 s9, s9, s10
	s_mul_hi_u32 s5, s3, s4
	s_mul_i32 s8, s3, s4
	s_mul_i32 s11, s2, s9
	s_mul_hi_u32 s4, s2, s4
	s_mul_hi_u32 s10, s2, s9
	s_add_u32 s4, s4, s11
	s_addc_u32 s10, 0, s10
	s_add_u32 s4, s4, s8
	s_mul_hi_u32 s11, s3, s9
	s_addc_u32 s4, s10, s5
	s_addc_u32 s5, s11, 0
	s_mul_i32 s8, s3, s9
	s_add_u32 s4, s4, s8
	v_mov_b32_e32 v32, s4
	s_addc_u32 s5, 0, s5
	v_add_co_u32_e32 v32, vcc, s2, v32
	s_cmp_lg_u64 vcc, 0
	s_addc_u32 s2, s3, s5
	v_readfirstlane_b32 s5, v32
	s_mul_i32 s4, s0, s2
	s_mul_hi_u32 s8, s0, s5
	s_mul_hi_u32 s3, s0, s2
	s_add_u32 s4, s8, s4
	s_addc_u32 s3, 0, s3
	s_mul_hi_u32 s9, s1, s5
	s_mul_i32 s5, s1, s5
	s_add_u32 s4, s4, s5
	s_mul_hi_u32 s8, s1, s2
	s_addc_u32 s3, s3, s9
	s_addc_u32 s4, s8, 0
	s_mul_i32 s2, s1, s2
	s_add_u32 s2, s3, s2
	s_addc_u32 s3, 0, s4
	s_add_u32 s4, s2, 1
	s_addc_u32 s5, s3, 0
	s_add_u32 s8, s2, 2
	s_mul_i32 s10, s3, 15
	s_mul_hi_u32 s11, s2, 15
	s_addc_u32 s9, s3, 0
	s_add_i32 s11, s11, s10
	s_mul_i32 s10, s2, 15
	v_mov_b32_e32 v32, s10
	v_sub_co_u32_e32 v32, vcc, s0, v32
	s_cmp_lg_u64 vcc, 0
	s_subb_u32 s10, s1, s11
	v_subrev_co_u32_e32 v33, vcc, 15, v32
	s_cmp_lg_u64 vcc, 0
	s_subb_u32 s11, s10, 0
	v_readfirstlane_b32 s12, v33
	s_cmp_gt_u32 s12, 14
	s_cselect_b32 s12, -1, 0
	s_cmp_eq_u32 s11, 0
	s_cselect_b32 s11, s12, -1
	s_cmp_lg_u32 s11, 0
	s_cselect_b32 s4, s8, s4
	v_readfirstlane_b32 s8, v32
	s_cselect_b32 s5, s9, s5
	s_cmp_gt_u32 s8, 14
	s_cselect_b32 s8, -1, 0
	s_cmp_eq_u32 s10, 0
	s_cselect_b32 s8, s8, -1
	s_cmp_lg_u32 s8, 0
	v_mov_b32_e32 v1, v49
	s_cselect_b32 s3, s5, s3
	s_cselect_b32 s2, s4, s2
	v_cmp_eq_u64_e32 vcc, s[2:3], v[0:1]
	s_and_saveexec_b64 s[2:3], vcc
	s_cbranch_execz .LBB93_157
; %bb.104:
	v_mul_hi_u32_u24_e32 v1, 15, v0
	v_mov_b32_e32 v32, s1
	v_sub_co_u32_e32 v0, vcc, s0, v66
	s_nop 1
	v_subb_co_u32_e32 v1, vcc, v32, v1, vcc
	v_cmp_lt_i64_e32 vcc, 7, v[0:1]
	s_and_saveexec_b64 s[0:1], vcc
	s_xor_b64 s[0:1], exec, s[0:1]
	s_cbranch_execz .LBB93_130
; %bb.105:
	v_cmp_lt_i64_e32 vcc, 10, v[0:1]
	s_and_saveexec_b64 s[2:3], vcc
	s_xor_b64 s[2:3], exec, s[2:3]
	s_cbranch_execz .LBB93_119
; %bb.106:
	;; [unrolled: 5-line block ×4, first 2 shown]
	v_mov_b32_e32 v0, 0
	global_store_dwordx2 v0, v[30:31], s[6:7]
                                        ; implicit-def: $vgpr22_vgpr23_vgpr24_vgpr25
.LBB93_109:
	s_andn2_saveexec_b64 s[8:9], s[8:9]
	s_cbranch_execz .LBB93_111
; %bb.110:
	v_mov_b32_e32 v0, 0
	global_store_dwordx2 v0, v[24:25], s[6:7]
.LBB93_111:
	s_or_b64 exec, exec, s[8:9]
                                        ; implicit-def: $vgpr2_vgpr3_vgpr4_vgpr5
                                        ; implicit-def: $vgpr0_vgpr1
                                        ; implicit-def: $vgpr22_vgpr23_vgpr24_vgpr25
.LBB93_112:
	s_andn2_saveexec_b64 s[4:5], s[4:5]
	s_cbranch_execz .LBB93_118
; %bb.113:
	v_cmp_lt_i64_e32 vcc, 11, v[0:1]
	s_and_saveexec_b64 s[8:9], vcc
	s_xor_b64 s[8:9], exec, s[8:9]
	s_cbranch_execz .LBB93_115
; %bb.114:
	v_mov_b32_e32 v0, 0
	global_store_dwordx2 v0, v[22:23], s[6:7]
                                        ; implicit-def: $vgpr2_vgpr3_vgpr4_vgpr5
.LBB93_115:
	s_andn2_saveexec_b64 s[8:9], s[8:9]
	s_cbranch_execz .LBB93_117
; %bb.116:
	v_mov_b32_e32 v0, 0
	global_store_dwordx2 v0, v[4:5], s[6:7]
.LBB93_117:
	s_or_b64 exec, exec, s[8:9]
.LBB93_118:
	s_or_b64 exec, exec, s[4:5]
                                        ; implicit-def: $vgpr18_vgpr19_vgpr20_vgpr21
                                        ; implicit-def: $vgpr0_vgpr1
                                        ; implicit-def: $vgpr2_vgpr3_vgpr4_vgpr5
.LBB93_119:
	s_andn2_saveexec_b64 s[2:3], s[2:3]
	s_cbranch_execz .LBB93_129
; %bb.120:
	v_cmp_lt_i64_e32 vcc, 8, v[0:1]
	s_and_saveexec_b64 s[4:5], vcc
	s_xor_b64 s[4:5], exec, s[4:5]
	s_cbranch_execz .LBB93_126
; %bb.121:
	v_cmp_lt_i64_e32 vcc, 9, v[0:1]
	s_and_saveexec_b64 s[8:9], vcc
	s_xor_b64 s[8:9], exec, s[8:9]
	s_cbranch_execz .LBB93_123
; %bb.122:
	v_mov_b32_e32 v0, 0
	global_store_dwordx2 v0, v[2:3], s[6:7]
                                        ; implicit-def: $vgpr18_vgpr19_vgpr20_vgpr21
.LBB93_123:
	s_andn2_saveexec_b64 s[8:9], s[8:9]
	s_cbranch_execz .LBB93_125
; %bb.124:
	v_mov_b32_e32 v0, 0
	global_store_dwordx2 v0, v[20:21], s[6:7]
.LBB93_125:
	s_or_b64 exec, exec, s[8:9]
                                        ; implicit-def: $vgpr18_vgpr19_vgpr20_vgpr21
.LBB93_126:
	s_andn2_saveexec_b64 s[4:5], s[4:5]
	s_cbranch_execz .LBB93_128
; %bb.127:
	v_mov_b32_e32 v0, 0
	global_store_dwordx2 v0, v[18:19], s[6:7]
.LBB93_128:
	s_or_b64 exec, exec, s[4:5]
.LBB93_129:
	s_or_b64 exec, exec, s[2:3]
                                        ; implicit-def: $vgpr0_vgpr1
                                        ; implicit-def: $vgpr6_vgpr7_vgpr8_vgpr9
                                        ; implicit-def: $vgpr10_vgpr11_vgpr12_vgpr13
                                        ; implicit-def: $vgpr14_vgpr15_vgpr16_vgpr17
                                        ; implicit-def: $vgpr26_vgpr27_vgpr28_vgpr29
.LBB93_130:
	s_andn2_saveexec_b64 s[0:1], s[0:1]
	s_cbranch_execz .LBB93_157
; %bb.131:
	v_cmp_lt_i64_e32 vcc, 3, v[0:1]
	s_and_saveexec_b64 s[0:1], vcc
	s_xor_b64 s[0:1], exec, s[0:1]
	s_cbranch_execz .LBB93_145
; %bb.132:
	v_cmp_lt_i64_e32 vcc, 5, v[0:1]
	s_and_saveexec_b64 s[2:3], vcc
	s_xor_b64 s[2:3], exec, s[2:3]
	;; [unrolled: 5-line block ×3, first 2 shown]
	s_cbranch_execz .LBB93_135
; %bb.134:
	v_mov_b32_e32 v0, 0
	global_store_dwordx2 v0, v[28:29], s[6:7]
                                        ; implicit-def: $vgpr26_vgpr27_vgpr28_vgpr29
.LBB93_135:
	s_andn2_saveexec_b64 s[4:5], s[4:5]
	s_cbranch_execz .LBB93_137
; %bb.136:
	v_mov_b32_e32 v0, 0
	global_store_dwordx2 v0, v[26:27], s[6:7]
.LBB93_137:
	s_or_b64 exec, exec, s[4:5]
                                        ; implicit-def: $vgpr10_vgpr11_vgpr12_vgpr13
                                        ; implicit-def: $vgpr0_vgpr1
.LBB93_138:
	s_andn2_saveexec_b64 s[2:3], s[2:3]
	s_cbranch_execz .LBB93_144
; %bb.139:
	v_cmp_lt_i64_e32 vcc, 4, v[0:1]
	s_and_saveexec_b64 s[4:5], vcc
	s_xor_b64 s[4:5], exec, s[4:5]
	s_cbranch_execz .LBB93_141
; %bb.140:
	v_mov_b32_e32 v0, 0
	global_store_dwordx2 v0, v[12:13], s[6:7]
                                        ; implicit-def: $vgpr10_vgpr11_vgpr12_vgpr13
.LBB93_141:
	s_andn2_saveexec_b64 s[4:5], s[4:5]
	s_cbranch_execz .LBB93_143
; %bb.142:
	v_mov_b32_e32 v0, 0
	global_store_dwordx2 v0, v[10:11], s[6:7]
.LBB93_143:
	s_or_b64 exec, exec, s[4:5]
.LBB93_144:
	s_or_b64 exec, exec, s[2:3]
                                        ; implicit-def: $vgpr0_vgpr1
                                        ; implicit-def: $vgpr6_vgpr7_vgpr8_vgpr9
                                        ; implicit-def: $vgpr14_vgpr15_vgpr16_vgpr17
.LBB93_145:
	s_andn2_saveexec_b64 s[0:1], s[0:1]
	s_cbranch_execz .LBB93_157
; %bb.146:
	v_cmp_lt_i64_e32 vcc, 1, v[0:1]
	s_and_saveexec_b64 s[0:1], vcc
	s_xor_b64 s[0:1], exec, s[0:1]
	s_cbranch_execz .LBB93_152
; %bb.147:
	v_cmp_lt_i64_e32 vcc, 2, v[0:1]
	s_and_saveexec_b64 s[2:3], vcc
	s_xor_b64 s[2:3], exec, s[2:3]
	s_cbranch_execz .LBB93_149
; %bb.148:
	v_mov_b32_e32 v0, 0
	global_store_dwordx2 v0, v[16:17], s[6:7]
                                        ; implicit-def: $vgpr14_vgpr15_vgpr16_vgpr17
.LBB93_149:
	s_andn2_saveexec_b64 s[2:3], s[2:3]
	s_cbranch_execz .LBB93_151
; %bb.150:
	v_mov_b32_e32 v0, 0
	global_store_dwordx2 v0, v[14:15], s[6:7]
.LBB93_151:
	s_or_b64 exec, exec, s[2:3]
                                        ; implicit-def: $vgpr6_vgpr7_vgpr8_vgpr9
                                        ; implicit-def: $vgpr0_vgpr1
.LBB93_152:
	s_andn2_saveexec_b64 s[0:1], s[0:1]
	s_cbranch_execz .LBB93_157
; %bb.153:
	v_cmp_ne_u64_e32 vcc, 1, v[0:1]
	s_and_saveexec_b64 s[0:1], vcc
	s_xor_b64 s[0:1], exec, s[0:1]
	s_cbranch_execz .LBB93_155
; %bb.154:
	v_mov_b32_e32 v0, 0
	global_store_dwordx2 v0, v[6:7], s[6:7]
                                        ; implicit-def: $vgpr6_vgpr7_vgpr8_vgpr9
.LBB93_155:
	s_andn2_saveexec_b64 s[0:1], s[0:1]
	s_cbranch_execz .LBB93_157
; %bb.156:
	v_mov_b32_e32 v0, 0
	global_store_dwordx2 v0, v[8:9], s[6:7]
.LBB93_157:
	s_endpgm
.LBB93_158:
	v_add_u32_e32 v30, -1, v0
	v_lshrrev_b32_e32 v31, 5, v30
	v_add_lshl_u32 v30, v31, v30, 3
	ds_read_b64 v[30:31], v30
	s_or_b64 exec, exec, s[4:5]
	s_and_saveexec_b64 s[4:5], s[2:3]
	s_cbranch_execz .LBB93_66
.LBB93_159:
	s_waitcnt lgkmcnt(0)
	v_pk_add_f32 v[2:3], v[30:31], v[2:3]
	s_nop 0
	v_pk_add_f32 v[46:47], v[2:3], v[4:5]
	s_nop 0
	;; [unrolled: 2-line block ×13, first 2 shown]
	v_pk_add_f32 v[32:33], v[52:53], v[8:9]
	s_or_b64 exec, exec, s[4:5]
	s_and_saveexec_b64 s[2:3], vcc
	s_cbranch_execnz .LBB93_67
	s_branch .LBB93_68
	.section	.rodata,"a",@progbits
	.p2align	6, 0x0
	.amdhsa_kernel _ZN7rocprim17ROCPRIM_304000_NS6detail20lookback_scan_kernelILNS1_25lookback_scan_determinismE0ELb0ENS1_19wrapped_scan_configINS0_14default_configEN3c107complexIfEEEEPKS8_PS8_St4plusIS8_ES8_S8_NS1_19lookback_scan_stateIS8_Lb0ELb1EEEEEvT2_T3_mT5_T4_T7_jPT6_SN_bb
		.amdhsa_group_segment_fixed_size 30720
		.amdhsa_private_segment_fixed_size 0
		.amdhsa_kernarg_size 76
		.amdhsa_user_sgpr_count 2
		.amdhsa_user_sgpr_dispatch_ptr 0
		.amdhsa_user_sgpr_queue_ptr 0
		.amdhsa_user_sgpr_kernarg_segment_ptr 1
		.amdhsa_user_sgpr_dispatch_id 0
		.amdhsa_user_sgpr_kernarg_preload_length 0
		.amdhsa_user_sgpr_kernarg_preload_offset 0
		.amdhsa_user_sgpr_private_segment_size 0
		.amdhsa_uses_dynamic_stack 0
		.amdhsa_enable_private_segment 0
		.amdhsa_system_sgpr_workgroup_id_x 1
		.amdhsa_system_sgpr_workgroup_id_y 0
		.amdhsa_system_sgpr_workgroup_id_z 0
		.amdhsa_system_sgpr_workgroup_info 0
		.amdhsa_system_vgpr_workitem_id 0
		.amdhsa_next_free_vgpr 77
		.amdhsa_next_free_sgpr 30
		.amdhsa_accum_offset 80
		.amdhsa_reserve_vcc 1
		.amdhsa_float_round_mode_32 0
		.amdhsa_float_round_mode_16_64 0
		.amdhsa_float_denorm_mode_32 3
		.amdhsa_float_denorm_mode_16_64 3
		.amdhsa_dx10_clamp 1
		.amdhsa_ieee_mode 1
		.amdhsa_fp16_overflow 0
		.amdhsa_tg_split 0
		.amdhsa_exception_fp_ieee_invalid_op 0
		.amdhsa_exception_fp_denorm_src 0
		.amdhsa_exception_fp_ieee_div_zero 0
		.amdhsa_exception_fp_ieee_overflow 0
		.amdhsa_exception_fp_ieee_underflow 0
		.amdhsa_exception_fp_ieee_inexact 0
		.amdhsa_exception_int_div_zero 0
	.end_amdhsa_kernel
	.section	.text._ZN7rocprim17ROCPRIM_304000_NS6detail20lookback_scan_kernelILNS1_25lookback_scan_determinismE0ELb0ENS1_19wrapped_scan_configINS0_14default_configEN3c107complexIfEEEEPKS8_PS8_St4plusIS8_ES8_S8_NS1_19lookback_scan_stateIS8_Lb0ELb1EEEEEvT2_T3_mT5_T4_T7_jPT6_SN_bb,"axG",@progbits,_ZN7rocprim17ROCPRIM_304000_NS6detail20lookback_scan_kernelILNS1_25lookback_scan_determinismE0ELb0ENS1_19wrapped_scan_configINS0_14default_configEN3c107complexIfEEEEPKS8_PS8_St4plusIS8_ES8_S8_NS1_19lookback_scan_stateIS8_Lb0ELb1EEEEEvT2_T3_mT5_T4_T7_jPT6_SN_bb,comdat
.Lfunc_end93:
	.size	_ZN7rocprim17ROCPRIM_304000_NS6detail20lookback_scan_kernelILNS1_25lookback_scan_determinismE0ELb0ENS1_19wrapped_scan_configINS0_14default_configEN3c107complexIfEEEEPKS8_PS8_St4plusIS8_ES8_S8_NS1_19lookback_scan_stateIS8_Lb0ELb1EEEEEvT2_T3_mT5_T4_T7_jPT6_SN_bb, .Lfunc_end93-_ZN7rocprim17ROCPRIM_304000_NS6detail20lookback_scan_kernelILNS1_25lookback_scan_determinismE0ELb0ENS1_19wrapped_scan_configINS0_14default_configEN3c107complexIfEEEEPKS8_PS8_St4plusIS8_ES8_S8_NS1_19lookback_scan_stateIS8_Lb0ELb1EEEEEvT2_T3_mT5_T4_T7_jPT6_SN_bb
                                        ; -- End function
	.section	.AMDGPU.csdata,"",@progbits
; Kernel info:
; codeLenInByte = 7304
; NumSgprs: 36
; NumVgprs: 77
; NumAgprs: 0
; TotalNumVgprs: 77
; ScratchSize: 0
; MemoryBound: 0
; FloatMode: 240
; IeeeMode: 1
; LDSByteSize: 30720 bytes/workgroup (compile time only)
; SGPRBlocks: 4
; VGPRBlocks: 9
; NumSGPRsForWavesPerEU: 36
; NumVGPRsForWavesPerEU: 77
; AccumOffset: 80
; Occupancy: 2
; WaveLimiterHint : 1
; COMPUTE_PGM_RSRC2:SCRATCH_EN: 0
; COMPUTE_PGM_RSRC2:USER_SGPR: 2
; COMPUTE_PGM_RSRC2:TRAP_HANDLER: 0
; COMPUTE_PGM_RSRC2:TGID_X_EN: 1
; COMPUTE_PGM_RSRC2:TGID_Y_EN: 0
; COMPUTE_PGM_RSRC2:TGID_Z_EN: 0
; COMPUTE_PGM_RSRC2:TIDIG_COMP_CNT: 0
; COMPUTE_PGM_RSRC3_GFX90A:ACCUM_OFFSET: 19
; COMPUTE_PGM_RSRC3_GFX90A:TG_SPLIT: 0
	.section	.text._ZN7rocprim17ROCPRIM_304000_NS6detail16transform_kernelINS1_24wrapped_transform_configINS0_14default_configEN3c107complexIfEEEES7_PS7_S9_NS0_8identityIS7_EEEEvT1_mT2_T3_,"axG",@progbits,_ZN7rocprim17ROCPRIM_304000_NS6detail16transform_kernelINS1_24wrapped_transform_configINS0_14default_configEN3c107complexIfEEEES7_PS7_S9_NS0_8identityIS7_EEEEvT1_mT2_T3_,comdat
	.protected	_ZN7rocprim17ROCPRIM_304000_NS6detail16transform_kernelINS1_24wrapped_transform_configINS0_14default_configEN3c107complexIfEEEES7_PS7_S9_NS0_8identityIS7_EEEEvT1_mT2_T3_ ; -- Begin function _ZN7rocprim17ROCPRIM_304000_NS6detail16transform_kernelINS1_24wrapped_transform_configINS0_14default_configEN3c107complexIfEEEES7_PS7_S9_NS0_8identityIS7_EEEEvT1_mT2_T3_
	.globl	_ZN7rocprim17ROCPRIM_304000_NS6detail16transform_kernelINS1_24wrapped_transform_configINS0_14default_configEN3c107complexIfEEEES7_PS7_S9_NS0_8identityIS7_EEEEvT1_mT2_T3_
	.p2align	8
	.type	_ZN7rocprim17ROCPRIM_304000_NS6detail16transform_kernelINS1_24wrapped_transform_configINS0_14default_configEN3c107complexIfEEEES7_PS7_S9_NS0_8identityIS7_EEEEvT1_mT2_T3_,@function
_ZN7rocprim17ROCPRIM_304000_NS6detail16transform_kernelINS1_24wrapped_transform_configINS0_14default_configEN3c107complexIfEEEES7_PS7_S9_NS0_8identityIS7_EEEEvT1_mT2_T3_: ; @_ZN7rocprim17ROCPRIM_304000_NS6detail16transform_kernelINS1_24wrapped_transform_configINS0_14default_configEN3c107complexIfEEEES7_PS7_S9_NS0_8identityIS7_EEEEvT1_mT2_T3_
; %bb.0:
	s_load_dword s3, s[0:1], 0x20
	s_load_dwordx4 s[4:7], s[0:1], 0x0
	s_load_dwordx2 s[8:9], s[0:1], 0x10
	s_lshl_b32 s10, s2, 9
	s_mov_b32 s11, 0
	s_waitcnt lgkmcnt(0)
	s_add_i32 s3, s3, -1
	s_lshl_b64 s[0:1], s[10:11], 3
	s_add_u32 s4, s4, s0
	s_addc_u32 s5, s5, s1
	v_mov_b32_e32 v3, 0
	v_lshlrev_b32_e32 v2, 3, v0
	s_cmp_lg_u32 s2, s3
	v_lshl_add_u64 v[4:5], s[4:5], 0, v[2:3]
	s_cbranch_scc0 .LBB94_2
; %bb.1:
	global_load_dwordx2 v[8:9], v[4:5], off
	global_load_dwordx2 v[6:7], v[4:5], off offset:2048
	s_add_u32 s2, s8, s0
	s_addc_u32 s3, s9, s1
	s_waitcnt vmcnt(1)
	global_store_dwordx2 v2, v[8:9], s[2:3]
	s_mov_b64 s[2:3], -1
	s_cbranch_execz .LBB94_3
	s_branch .LBB94_10
.LBB94_2:
	s_mov_b64 s[2:3], 0
                                        ; implicit-def: $vgpr6_vgpr7
.LBB94_3:
	s_sub_i32 s5, s6, s10
	v_cmp_gt_u32_e32 vcc, s5, v0
	s_mov_b32 s4, 0
	v_mov_b32_e32 v8, 0
	v_mov_b32_e32 v9, 0
	s_and_saveexec_b64 s[2:3], vcc
	s_cbranch_execz .LBB94_5
; %bb.4:
	global_load_dwordx2 v[8:9], v[4:5], off
.LBB94_5:
	s_or_b64 exec, exec, s[2:3]
	v_or_b32_e32 v0, 0x100, v0
	v_cmp_gt_u32_e64 s[2:3], s5, v0
	s_mov_b32 s5, s4
	s_waitcnt vmcnt(1)
	v_mov_b64_e32 v[6:7], s[4:5]
	s_and_saveexec_b64 s[4:5], s[2:3]
	s_cbranch_execz .LBB94_7
; %bb.6:
	global_load_dwordx2 v[6:7], v[4:5], off offset:2048
.LBB94_7:
	s_or_b64 exec, exec, s[4:5]
	s_and_saveexec_b64 s[4:5], vcc
	s_cbranch_execz .LBB94_9
; %bb.8:
	s_add_u32 s6, s8, s0
	s_addc_u32 s7, s9, s1
	s_waitcnt vmcnt(0)
	global_store_dwordx2 v2, v[8:9], s[6:7]
.LBB94_9:
	s_or_b64 exec, exec, s[4:5]
.LBB94_10:
	s_and_saveexec_b64 s[4:5], s[2:3]
	s_cbranch_execnz .LBB94_12
; %bb.11:
	s_endpgm
.LBB94_12:
	s_add_u32 s0, s8, s0
	s_addc_u32 s1, s9, s1
	s_waitcnt vmcnt(0)
	global_store_dwordx2 v2, v[6:7], s[0:1] offset:2048
	s_endpgm
	.section	.rodata,"a",@progbits
	.p2align	6, 0x0
	.amdhsa_kernel _ZN7rocprim17ROCPRIM_304000_NS6detail16transform_kernelINS1_24wrapped_transform_configINS0_14default_configEN3c107complexIfEEEES7_PS7_S9_NS0_8identityIS7_EEEEvT1_mT2_T3_
		.amdhsa_group_segment_fixed_size 0
		.amdhsa_private_segment_fixed_size 0
		.amdhsa_kernarg_size 288
		.amdhsa_user_sgpr_count 2
		.amdhsa_user_sgpr_dispatch_ptr 0
		.amdhsa_user_sgpr_queue_ptr 0
		.amdhsa_user_sgpr_kernarg_segment_ptr 1
		.amdhsa_user_sgpr_dispatch_id 0
		.amdhsa_user_sgpr_kernarg_preload_length 0
		.amdhsa_user_sgpr_kernarg_preload_offset 0
		.amdhsa_user_sgpr_private_segment_size 0
		.amdhsa_uses_dynamic_stack 0
		.amdhsa_enable_private_segment 0
		.amdhsa_system_sgpr_workgroup_id_x 1
		.amdhsa_system_sgpr_workgroup_id_y 0
		.amdhsa_system_sgpr_workgroup_id_z 0
		.amdhsa_system_sgpr_workgroup_info 0
		.amdhsa_system_vgpr_workitem_id 0
		.amdhsa_next_free_vgpr 10
		.amdhsa_next_free_sgpr 12
		.amdhsa_accum_offset 12
		.amdhsa_reserve_vcc 1
		.amdhsa_float_round_mode_32 0
		.amdhsa_float_round_mode_16_64 0
		.amdhsa_float_denorm_mode_32 3
		.amdhsa_float_denorm_mode_16_64 3
		.amdhsa_dx10_clamp 1
		.amdhsa_ieee_mode 1
		.amdhsa_fp16_overflow 0
		.amdhsa_tg_split 0
		.amdhsa_exception_fp_ieee_invalid_op 0
		.amdhsa_exception_fp_denorm_src 0
		.amdhsa_exception_fp_ieee_div_zero 0
		.amdhsa_exception_fp_ieee_overflow 0
		.amdhsa_exception_fp_ieee_underflow 0
		.amdhsa_exception_fp_ieee_inexact 0
		.amdhsa_exception_int_div_zero 0
	.end_amdhsa_kernel
	.section	.text._ZN7rocprim17ROCPRIM_304000_NS6detail16transform_kernelINS1_24wrapped_transform_configINS0_14default_configEN3c107complexIfEEEES7_PS7_S9_NS0_8identityIS7_EEEEvT1_mT2_T3_,"axG",@progbits,_ZN7rocprim17ROCPRIM_304000_NS6detail16transform_kernelINS1_24wrapped_transform_configINS0_14default_configEN3c107complexIfEEEES7_PS7_S9_NS0_8identityIS7_EEEEvT1_mT2_T3_,comdat
.Lfunc_end94:
	.size	_ZN7rocprim17ROCPRIM_304000_NS6detail16transform_kernelINS1_24wrapped_transform_configINS0_14default_configEN3c107complexIfEEEES7_PS7_S9_NS0_8identityIS7_EEEEvT1_mT2_T3_, .Lfunc_end94-_ZN7rocprim17ROCPRIM_304000_NS6detail16transform_kernelINS1_24wrapped_transform_configINS0_14default_configEN3c107complexIfEEEES7_PS7_S9_NS0_8identityIS7_EEEEvT1_mT2_T3_
                                        ; -- End function
	.section	.AMDGPU.csdata,"",@progbits
; Kernel info:
; codeLenInByte = 284
; NumSgprs: 18
; NumVgprs: 10
; NumAgprs: 0
; TotalNumVgprs: 10
; ScratchSize: 0
; MemoryBound: 0
; FloatMode: 240
; IeeeMode: 1
; LDSByteSize: 0 bytes/workgroup (compile time only)
; SGPRBlocks: 2
; VGPRBlocks: 1
; NumSGPRsForWavesPerEU: 18
; NumVGPRsForWavesPerEU: 10
; AccumOffset: 12
; Occupancy: 8
; WaveLimiterHint : 1
; COMPUTE_PGM_RSRC2:SCRATCH_EN: 0
; COMPUTE_PGM_RSRC2:USER_SGPR: 2
; COMPUTE_PGM_RSRC2:TRAP_HANDLER: 0
; COMPUTE_PGM_RSRC2:TGID_X_EN: 1
; COMPUTE_PGM_RSRC2:TGID_Y_EN: 0
; COMPUTE_PGM_RSRC2:TGID_Z_EN: 0
; COMPUTE_PGM_RSRC2:TIDIG_COMP_CNT: 0
; COMPUTE_PGM_RSRC3_GFX90A:ACCUM_OFFSET: 2
; COMPUTE_PGM_RSRC3_GFX90A:TG_SPLIT: 0
	.section	.text._ZN7rocprim17ROCPRIM_304000_NS6detail18single_scan_kernelILb0ENS1_19wrapped_scan_configINS0_14default_configEN3c107complexIfEEEEPKS7_PS7_St4plusIS7_ES7_S7_EEvT1_mT4_T2_T3_,"axG",@progbits,_ZN7rocprim17ROCPRIM_304000_NS6detail18single_scan_kernelILb0ENS1_19wrapped_scan_configINS0_14default_configEN3c107complexIfEEEEPKS7_PS7_St4plusIS7_ES7_S7_EEvT1_mT4_T2_T3_,comdat
	.protected	_ZN7rocprim17ROCPRIM_304000_NS6detail18single_scan_kernelILb0ENS1_19wrapped_scan_configINS0_14default_configEN3c107complexIfEEEEPKS7_PS7_St4plusIS7_ES7_S7_EEvT1_mT4_T2_T3_ ; -- Begin function _ZN7rocprim17ROCPRIM_304000_NS6detail18single_scan_kernelILb0ENS1_19wrapped_scan_configINS0_14default_configEN3c107complexIfEEEEPKS7_PS7_St4plusIS7_ES7_S7_EEvT1_mT4_T2_T3_
	.globl	_ZN7rocprim17ROCPRIM_304000_NS6detail18single_scan_kernelILb0ENS1_19wrapped_scan_configINS0_14default_configEN3c107complexIfEEEEPKS7_PS7_St4plusIS7_ES7_S7_EEvT1_mT4_T2_T3_
	.p2align	8
	.type	_ZN7rocprim17ROCPRIM_304000_NS6detail18single_scan_kernelILb0ENS1_19wrapped_scan_configINS0_14default_configEN3c107complexIfEEEEPKS7_PS7_St4plusIS7_ES7_S7_EEvT1_mT4_T2_T3_,@function
_ZN7rocprim17ROCPRIM_304000_NS6detail18single_scan_kernelILb0ENS1_19wrapped_scan_configINS0_14default_configEN3c107complexIfEEEEPKS7_PS7_St4plusIS7_ES7_S7_EEvT1_mT4_T2_T3_: ; @_ZN7rocprim17ROCPRIM_304000_NS6detail18single_scan_kernelILb0ENS1_19wrapped_scan_configINS0_14default_configEN3c107complexIfEEEEPKS7_PS7_St4plusIS7_ES7_S7_EEvT1_mT4_T2_T3_
; %bb.0:
	s_load_dwordx4 s[28:31], s[0:1], 0x0
	v_mov_b32_e32 v31, 0
	v_lshlrev_b32_e32 v30, 3, v0
	s_waitcnt lgkmcnt(0)
	s_load_dwordx2 s[34:35], s[28:29], 0x0
	v_lshl_add_u64 v[4:5], s[28:29], 0, v[30:31]
	v_cmp_gt_u32_e64 s[26:27], s30, v0
	s_waitcnt lgkmcnt(0)
	v_mov_b64_e32 v[2:3], s[34:35]
	s_and_saveexec_b64 s[2:3], s[26:27]
	s_cbranch_execz .LBB95_2
; %bb.1:
	global_load_dwordx2 v[2:3], v[4:5], off
.LBB95_2:
	s_or_b64 exec, exec, s[2:3]
	v_or_b32_e32 v1, 0x100, v0
	v_cmp_gt_u32_e64 s[2:3], s30, v1
	v_mov_b64_e32 v[6:7], s[34:35]
	s_and_saveexec_b64 s[4:5], s[2:3]
	s_cbranch_execz .LBB95_4
; %bb.3:
	global_load_dwordx2 v[6:7], v[4:5], off offset:2048
.LBB95_4:
	s_or_b64 exec, exec, s[4:5]
	v_or_b32_e32 v1, 0x200, v0
	v_cmp_gt_u32_e64 s[4:5], s30, v1
	v_mov_b64_e32 v[8:9], s[34:35]
	s_and_saveexec_b64 s[6:7], s[4:5]
	s_cbranch_execz .LBB95_6
; %bb.5:
	v_add_co_u32_e32 v8, vcc, 0x1000, v4
	s_nop 1
	v_addc_co_u32_e32 v9, vcc, 0, v5, vcc
	global_load_dwordx2 v[8:9], v[8:9], off
.LBB95_6:
	s_or_b64 exec, exec, s[6:7]
	v_or_b32_e32 v1, 0x300, v0
	v_cmp_gt_u32_e64 s[6:7], s30, v1
	v_mov_b64_e32 v[10:11], s[34:35]
	s_and_saveexec_b64 s[8:9], s[6:7]
	s_cbranch_execz .LBB95_8
; %bb.7:
	v_add_co_u32_e32 v10, vcc, 0x1000, v4
	s_nop 1
	v_addc_co_u32_e32 v11, vcc, 0, v5, vcc
	global_load_dwordx2 v[10:11], v[10:11], off offset:2048
.LBB95_8:
	s_or_b64 exec, exec, s[8:9]
	v_or_b32_e32 v1, 0x400, v0
	v_cmp_gt_u32_e64 s[8:9], s30, v1
	v_mov_b64_e32 v[12:13], s[34:35]
	s_and_saveexec_b64 s[10:11], s[8:9]
	s_cbranch_execz .LBB95_10
; %bb.9:
	v_add_co_u32_e32 v12, vcc, 0x2000, v4
	s_nop 1
	v_addc_co_u32_e32 v13, vcc, 0, v5, vcc
	global_load_dwordx2 v[12:13], v[12:13], off
.LBB95_10:
	s_or_b64 exec, exec, s[10:11]
	v_or_b32_e32 v1, 0x500, v0
	v_cmp_gt_u32_e64 s[10:11], s30, v1
	v_mov_b64_e32 v[14:15], s[34:35]
	s_and_saveexec_b64 s[12:13], s[10:11]
	s_cbranch_execz .LBB95_12
; %bb.11:
	v_add_co_u32_e32 v14, vcc, 0x2000, v4
	s_nop 1
	v_addc_co_u32_e32 v15, vcc, 0, v5, vcc
	global_load_dwordx2 v[14:15], v[14:15], off offset:2048
.LBB95_12:
	;; [unrolled: 24-line block ×6, first 2 shown]
	s_or_b64 exec, exec, s[36:37]
	v_or_b32_e32 v1, 0xe00, v0
	v_cmp_gt_u32_e64 s[30:31], s30, v1
	v_mov_b64_e32 v[34:35], s[34:35]
	s_and_saveexec_b64 s[34:35], s[30:31]
	s_cbranch_execz .LBB95_30
; %bb.29:
	v_add_co_u32_e32 v4, vcc, 0x7000, v4
	s_nop 1
	v_addc_co_u32_e32 v5, vcc, 0, v5, vcc
	global_load_dwordx2 v[34:35], v[4:5], off
.LBB95_30:
	s_or_b64 exec, exec, s[34:35]
	s_movk_i32 s33, 0x70
	v_mad_u32_u24 v1, v0, s33, v30
	s_waitcnt vmcnt(0)
	ds_write2st64_b64 v30, v[2:3], v[6:7] offset1:4
	ds_write2st64_b64 v30, v[8:9], v[10:11] offset0:8 offset1:12
	ds_write2st64_b64 v30, v[12:13], v[14:15] offset0:16 offset1:20
	;; [unrolled: 1-line block ×6, first 2 shown]
	ds_write_b64 v30, v[34:35] offset:28672
	s_waitcnt lgkmcnt(0)
	s_barrier
	ds_read2_b64 v[6:9], v1 offset0:8 offset1:9
	ds_read2_b64 v[10:13], v1 offset0:10 offset1:11
	ds_read2_b64 v[2:5], v1 offset1:1
	ds_read2_b64 v[18:21], v1 offset0:2 offset1:3
	ds_read2_b64 v[14:17], v1 offset0:12 offset1:13
	ds_read_b64 v[60:61], v1 offset:112
	ds_read2_b64 v[22:25], v1 offset0:4 offset1:5
	s_waitcnt lgkmcnt(4)
	v_pk_add_f32 v[56:57], v[4:5], v[2:3]
	ds_read2_b64 v[26:29], v1 offset0:6 offset1:7
	s_waitcnt lgkmcnt(4)
	v_pk_add_f32 v[54:55], v[56:57], v[18:19]
	v_lshrrev_b32_e32 v31, 2, v0
	v_pk_add_f32 v[58:59], v[54:55], v[20:21]
	v_and_b32_e32 v31, 56, v31
	s_waitcnt lgkmcnt(1)
	v_pk_add_f32 v[48:49], v[58:59], v[22:23]
	v_add_u32_e32 v31, v30, v31
	v_pk_add_f32 v[50:51], v[48:49], v[24:25]
	v_cmp_gt_u32_e32 vcc, 64, v0
	s_waitcnt lgkmcnt(0)
	v_pk_add_f32 v[44:45], v[50:51], v[26:27]
	s_nop 0
	v_pk_add_f32 v[52:53], v[44:45], v[28:29]
	s_barrier
	v_pk_add_f32 v[42:43], v[52:53], v[6:7]
	s_nop 0
	v_pk_add_f32 v[46:47], v[42:43], v[8:9]
	s_nop 0
	;; [unrolled: 2-line block ×6, first 2 shown]
	v_pk_add_f32 v[36:37], v[34:35], v[60:61]
	ds_write_b64 v31, v[36:37]
	s_waitcnt lgkmcnt(0)
	s_barrier
	s_and_saveexec_b64 s[34:35], vcc
	s_cbranch_execz .LBB95_32
; %bb.31:
	v_lshlrev_b32_e32 v31, 2, v0
	v_lshrrev_b32_e32 v62, 3, v0
	v_add_lshl_u32 v31, v62, v31, 3
	ds_read2_b64 v[62:65], v31 offset1:1
	ds_read2_b64 v[66:69], v31 offset0:2 offset1:3
	v_mbcnt_lo_u32_b32 v70, -1, 0
	v_mbcnt_hi_u32_b32 v74, -1, v70
	v_and_b32_e32 v75, 15, v74
	s_waitcnt lgkmcnt(1)
	v_pk_add_f32 v[70:71], v[62:63], v[64:65]
	v_cmp_eq_u32_e32 vcc, 0, v75
	s_waitcnt lgkmcnt(0)
	v_pk_add_f32 v[70:71], v[70:71], v[66:67]
	s_nop 0
	v_pk_add_f32 v[70:71], v[70:71], v[68:69]
	s_nop 1
	v_mov_b32_dpp v72, v70 row_shr:1 row_mask:0xf bank_mask:0xf
	v_mov_b32_dpp v73, v71 row_shr:1 row_mask:0xf bank_mask:0xf
	v_pk_add_f32 v[72:73], v[70:71], v[72:73]
	s_nop 0
	v_cndmask_b32_e32 v71, v73, v71, vcc
	v_cndmask_b32_e32 v70, v72, v70, vcc
	v_cmp_lt_u32_e32 vcc, 1, v75
	v_mov_b32_dpp v73, v71 row_shr:2 row_mask:0xf bank_mask:0xf
	v_mov_b32_dpp v72, v70 row_shr:2 row_mask:0xf bank_mask:0xf
	v_pk_add_f32 v[72:73], v[70:71], v[72:73]
	s_nop 0
	v_cndmask_b32_e32 v71, v71, v73, vcc
	v_cndmask_b32_e32 v70, v70, v72, vcc
	v_cmp_lt_u32_e32 vcc, 3, v75
	v_mov_b32_dpp v73, v71 row_shr:4 row_mask:0xf bank_mask:0xf
	v_mov_b32_dpp v72, v70 row_shr:4 row_mask:0xf bank_mask:0xf
	v_pk_add_f32 v[72:73], v[70:71], v[72:73]
	s_nop 0
	v_cndmask_b32_e32 v71, v71, v73, vcc
	v_cndmask_b32_e32 v70, v70, v72, vcc
	v_cmp_lt_u32_e32 vcc, 7, v75
	v_mov_b32_dpp v73, v71 row_shr:8 row_mask:0xf bank_mask:0xf
	v_mov_b32_dpp v72, v70 row_shr:8 row_mask:0xf bank_mask:0xf
	v_pk_add_f32 v[72:73], v[70:71], v[72:73]
	v_and_b32_e32 v75, 16, v74
	v_cndmask_b32_e32 v71, v71, v73, vcc
	v_cndmask_b32_e32 v70, v70, v72, vcc
	v_cmp_eq_u32_e32 vcc, 0, v75
	v_mov_b32_dpp v73, v71 row_bcast:15 row_mask:0xf bank_mask:0xf
	v_mov_b32_dpp v72, v70 row_bcast:15 row_mask:0xf bank_mask:0xf
	v_pk_add_f32 v[72:73], v[70:71], v[72:73]
	s_nop 0
	v_cndmask_b32_e32 v71, v73, v71, vcc
	v_cndmask_b32_e32 v70, v72, v70, vcc
	v_cmp_lt_u32_e32 vcc, 31, v74
	v_mov_b32_dpp v73, v71 row_bcast:31 row_mask:0xf bank_mask:0xf
	v_mov_b32_dpp v72, v70 row_bcast:31 row_mask:0xf bank_mask:0xf
	v_add_f32_e32 v73, v71, v73
	v_add_f32_e32 v72, v70, v72
	v_cndmask_b32_e32 v70, v70, v72, vcc
	v_cndmask_b32_e32 v71, v71, v73, vcc
	v_add_u32_e32 v72, -1, v74
	v_and_b32_e32 v73, 64, v74
	v_cmp_lt_i32_e32 vcc, v72, v73
	s_nop 1
	v_cndmask_b32_e32 v72, v72, v74, vcc
	v_lshlrev_b32_e32 v72, 2, v72
	ds_bpermute_b32 v70, v72, v70
	ds_bpermute_b32 v71, v72, v71
	v_cmp_eq_u32_e32 vcc, 0, v0
	s_waitcnt lgkmcnt(0)
	v_pk_add_f32 v[62:63], v[62:63], v[70:71]
	s_nop 0
	v_cndmask_b32_e32 v63, v63, v37, vcc
	v_cndmask_b32_e32 v62, v62, v36, vcc
	v_pk_add_f32 v[64:65], v[64:65], v[62:63]
	ds_write2_b64 v31, v[62:63], v[64:65] offset1:1
	v_pk_add_f32 v[62:63], v[66:67], v[64:65]
	s_nop 0
	v_pk_add_f32 v[64:65], v[68:69], v[62:63]
	ds_write2_b64 v31, v[62:63], v[64:65] offset0:2 offset1:3
.LBB95_32:
	s_or_b64 exec, exec, s[34:35]
	v_cmp_ne_u32_e32 vcc, 0, v0
	v_mov_b64_e32 v[62:63], v[36:37]
	s_waitcnt lgkmcnt(0)
	s_barrier
	s_and_saveexec_b64 s[34:35], vcc
	s_cbranch_execz .LBB95_34
; %bb.33:
	v_add_u32_e32 v31, -1, v0
	v_lshrrev_b32_e32 v62, 5, v31
	v_add_lshl_u32 v31, v62, v31, 3
	ds_read_b64 v[62:63], v31
.LBB95_34:
	s_or_b64 exec, exec, s[34:35]
	s_and_saveexec_b64 s[34:35], vcc
	s_cbranch_execz .LBB95_36
; %bb.35:
	s_waitcnt lgkmcnt(0)
	v_pk_add_f32 v[2:3], v[62:63], v[2:3]
	s_nop 0
	v_pk_add_f32 v[56:57], v[4:5], v[2:3]
	s_nop 0
	;; [unrolled: 2-line block ×14, first 2 shown]
	v_pk_add_f32 v[36:37], v[60:61], v[34:35]
.LBB95_36:
	s_or_b64 exec, exec, s[34:35]
	s_movk_i32 s33, 0xff90
	v_mad_i32_i24 v24, v0, s33, v1
	s_waitcnt lgkmcnt(0)
	s_barrier
	ds_write2_b64 v1, v[2:3], v[56:57] offset1:1
	ds_write2_b64 v1, v[54:55], v[58:59] offset0:2 offset1:3
	ds_write2_b64 v1, v[48:49], v[50:51] offset0:4 offset1:5
	;; [unrolled: 1-line block ×6, first 2 shown]
	ds_write_b64 v1, v[36:37] offset:112
	s_waitcnt lgkmcnt(0)
	s_barrier
	ds_read2st64_b64 v[20:23], v24 offset0:4 offset1:8
	ds_read2st64_b64 v[16:19], v24 offset0:12 offset1:20
	;; [unrolled: 1-line block ×6, first 2 shown]
	ds_read_b64 v[28:29], v30 offset:24576
	ds_read_b64 v[24:25], v24 offset:28672
	s_load_dwordx2 s[0:1], s[0:1], 0x18
	v_mov_b32_e32 v31, 0
	s_waitcnt lgkmcnt(0)
	v_lshl_add_u64 v[26:27], s[0:1], 0, v[30:31]
	s_and_saveexec_b64 s[0:1], s[26:27]
	s_cbranch_execnz .LBB95_52
; %bb.37:
	s_or_b64 exec, exec, s[0:1]
	s_and_saveexec_b64 s[0:1], s[2:3]
	s_cbranch_execnz .LBB95_53
.LBB95_38:
	s_or_b64 exec, exec, s[0:1]
	s_and_saveexec_b64 s[0:1], s[4:5]
	s_cbranch_execnz .LBB95_54
.LBB95_39:
	s_or_b64 exec, exec, s[0:1]
	s_and_saveexec_b64 s[0:1], s[6:7]
	s_cbranch_execnz .LBB95_55
.LBB95_40:
	s_or_b64 exec, exec, s[0:1]
	s_and_saveexec_b64 s[0:1], s[8:9]
	s_cbranch_execnz .LBB95_56
.LBB95_41:
	s_or_b64 exec, exec, s[0:1]
	s_and_saveexec_b64 s[0:1], s[10:11]
	s_cbranch_execnz .LBB95_57
.LBB95_42:
	s_or_b64 exec, exec, s[0:1]
	s_and_saveexec_b64 s[0:1], s[12:13]
	s_cbranch_execnz .LBB95_58
.LBB95_43:
	s_or_b64 exec, exec, s[0:1]
	s_and_saveexec_b64 s[0:1], s[14:15]
	s_cbranch_execnz .LBB95_59
.LBB95_44:
	s_or_b64 exec, exec, s[0:1]
	s_and_saveexec_b64 s[0:1], s[16:17]
	s_cbranch_execnz .LBB95_60
.LBB95_45:
	s_or_b64 exec, exec, s[0:1]
	s_and_saveexec_b64 s[0:1], s[18:19]
	s_cbranch_execnz .LBB95_61
.LBB95_46:
	s_or_b64 exec, exec, s[0:1]
	s_and_saveexec_b64 s[0:1], s[20:21]
	s_cbranch_execnz .LBB95_62
.LBB95_47:
	s_or_b64 exec, exec, s[0:1]
	s_and_saveexec_b64 s[0:1], s[22:23]
	s_cbranch_execnz .LBB95_63
.LBB95_48:
	s_or_b64 exec, exec, s[0:1]
	s_and_saveexec_b64 s[0:1], s[24:25]
	s_cbranch_execnz .LBB95_64
.LBB95_49:
	s_or_b64 exec, exec, s[0:1]
	s_and_saveexec_b64 s[0:1], s[28:29]
	s_cbranch_execnz .LBB95_65
.LBB95_50:
	s_or_b64 exec, exec, s[0:1]
	s_and_saveexec_b64 s[0:1], s[30:31]
	s_cbranch_execnz .LBB95_66
.LBB95_51:
	s_endpgm
.LBB95_52:
	ds_read_b64 v[30:31], v30
	s_waitcnt lgkmcnt(0)
	global_store_dwordx2 v[26:27], v[30:31], off
	s_or_b64 exec, exec, s[0:1]
	s_and_saveexec_b64 s[0:1], s[2:3]
	s_cbranch_execz .LBB95_38
.LBB95_53:
	global_store_dwordx2 v[26:27], v[20:21], off offset:2048
	s_or_b64 exec, exec, s[0:1]
	s_and_saveexec_b64 s[0:1], s[4:5]
	s_cbranch_execz .LBB95_39
.LBB95_54:
	v_add_co_u32_e32 v20, vcc, 0x1000, v26
	s_nop 1
	v_addc_co_u32_e32 v21, vcc, 0, v27, vcc
	global_store_dwordx2 v[20:21], v[22:23], off
	s_or_b64 exec, exec, s[0:1]
	s_and_saveexec_b64 s[0:1], s[6:7]
	s_cbranch_execz .LBB95_40
.LBB95_55:
	v_add_co_u32_e32 v20, vcc, 0x1000, v26
	s_nop 1
	v_addc_co_u32_e32 v21, vcc, 0, v27, vcc
	global_store_dwordx2 v[20:21], v[16:17], off offset:2048
	s_or_b64 exec, exec, s[0:1]
	s_and_saveexec_b64 s[0:1], s[8:9]
	s_cbranch_execz .LBB95_41
.LBB95_56:
	v_add_co_u32_e32 v16, vcc, 0x2000, v26
	s_nop 1
	v_addc_co_u32_e32 v17, vcc, 0, v27, vcc
	global_store_dwordx2 v[16:17], v[8:9], off
	s_or_b64 exec, exec, s[0:1]
	s_and_saveexec_b64 s[0:1], s[10:11]
	s_cbranch_execz .LBB95_42
.LBB95_57:
	v_add_co_u32_e32 v8, vcc, 0x2000, v26
	s_nop 1
	v_addc_co_u32_e32 v9, vcc, 0, v27, vcc
	global_store_dwordx2 v[8:9], v[18:19], off offset:2048
	s_or_b64 exec, exec, s[0:1]
	s_and_saveexec_b64 s[0:1], s[12:13]
	s_cbranch_execz .LBB95_43
.LBB95_58:
	v_add_co_u32_e32 v8, vcc, 0x3000, v26
	s_nop 1
	v_addc_co_u32_e32 v9, vcc, 0, v27, vcc
	global_store_dwordx2 v[8:9], v[12:13], off
	s_or_b64 exec, exec, s[0:1]
	s_and_saveexec_b64 s[0:1], s[14:15]
	s_cbranch_execz .LBB95_44
.LBB95_59:
	v_add_co_u32_e32 v8, vcc, 0x3000, v26
	s_nop 1
	v_addc_co_u32_e32 v9, vcc, 0, v27, vcc
	global_store_dwordx2 v[8:9], v[14:15], off offset:2048
	s_or_b64 exec, exec, s[0:1]
	s_and_saveexec_b64 s[0:1], s[16:17]
	s_cbranch_execz .LBB95_45
.LBB95_60:
	v_add_co_u32_e32 v8, vcc, 0x4000, v26
	s_nop 1
	v_addc_co_u32_e32 v9, vcc, 0, v27, vcc
	global_store_dwordx2 v[8:9], v[10:11], off
	s_or_b64 exec, exec, s[0:1]
	s_and_saveexec_b64 s[0:1], s[18:19]
	s_cbranch_execz .LBB95_46
.LBB95_61:
	v_add_co_u32_e32 v8, vcc, 0x4000, v26
	s_nop 1
	v_addc_co_u32_e32 v9, vcc, 0, v27, vcc
	global_store_dwordx2 v[8:9], v[4:5], off offset:2048
	s_or_b64 exec, exec, s[0:1]
	s_and_saveexec_b64 s[0:1], s[20:21]
	s_cbranch_execz .LBB95_47
.LBB95_62:
	v_add_co_u32_e32 v4, vcc, 0x5000, v26
	s_nop 1
	v_addc_co_u32_e32 v5, vcc, 0, v27, vcc
	global_store_dwordx2 v[4:5], v[6:7], off
	s_or_b64 exec, exec, s[0:1]
	s_and_saveexec_b64 s[0:1], s[22:23]
	s_cbranch_execz .LBB95_48
.LBB95_63:
	v_add_co_u32_e32 v4, vcc, 0x5000, v26
	s_nop 1
	v_addc_co_u32_e32 v5, vcc, 0, v27, vcc
	global_store_dwordx2 v[4:5], v[0:1], off offset:2048
	s_or_b64 exec, exec, s[0:1]
	s_and_saveexec_b64 s[0:1], s[24:25]
	s_cbranch_execz .LBB95_49
.LBB95_64:
	v_add_co_u32_e32 v0, vcc, 0x6000, v26
	s_nop 1
	v_addc_co_u32_e32 v1, vcc, 0, v27, vcc
	global_store_dwordx2 v[0:1], v[28:29], off
	s_or_b64 exec, exec, s[0:1]
	s_and_saveexec_b64 s[0:1], s[28:29]
	s_cbranch_execz .LBB95_50
.LBB95_65:
	v_add_co_u32_e32 v0, vcc, 0x6000, v26
	s_nop 1
	v_addc_co_u32_e32 v1, vcc, 0, v27, vcc
	global_store_dwordx2 v[0:1], v[2:3], off offset:2048
	s_or_b64 exec, exec, s[0:1]
	s_and_saveexec_b64 s[0:1], s[30:31]
	s_cbranch_execz .LBB95_51
.LBB95_66:
	v_add_co_u32_e32 v0, vcc, 0x7000, v26
	s_nop 1
	v_addc_co_u32_e32 v1, vcc, 0, v27, vcc
	global_store_dwordx2 v[0:1], v[24:25], off
	s_endpgm
	.section	.rodata,"a",@progbits
	.p2align	6, 0x0
	.amdhsa_kernel _ZN7rocprim17ROCPRIM_304000_NS6detail18single_scan_kernelILb0ENS1_19wrapped_scan_configINS0_14default_configEN3c107complexIfEEEEPKS7_PS7_St4plusIS7_ES7_S7_EEvT1_mT4_T2_T3_
		.amdhsa_group_segment_fixed_size 30720
		.amdhsa_private_segment_fixed_size 0
		.amdhsa_kernarg_size 36
		.amdhsa_user_sgpr_count 2
		.amdhsa_user_sgpr_dispatch_ptr 0
		.amdhsa_user_sgpr_queue_ptr 0
		.amdhsa_user_sgpr_kernarg_segment_ptr 1
		.amdhsa_user_sgpr_dispatch_id 0
		.amdhsa_user_sgpr_kernarg_preload_length 0
		.amdhsa_user_sgpr_kernarg_preload_offset 0
		.amdhsa_user_sgpr_private_segment_size 0
		.amdhsa_uses_dynamic_stack 0
		.amdhsa_enable_private_segment 0
		.amdhsa_system_sgpr_workgroup_id_x 1
		.amdhsa_system_sgpr_workgroup_id_y 0
		.amdhsa_system_sgpr_workgroup_id_z 0
		.amdhsa_system_sgpr_workgroup_info 0
		.amdhsa_system_vgpr_workitem_id 0
		.amdhsa_next_free_vgpr 76
		.amdhsa_next_free_sgpr 38
		.amdhsa_accum_offset 76
		.amdhsa_reserve_vcc 1
		.amdhsa_float_round_mode_32 0
		.amdhsa_float_round_mode_16_64 0
		.amdhsa_float_denorm_mode_32 3
		.amdhsa_float_denorm_mode_16_64 3
		.amdhsa_dx10_clamp 1
		.amdhsa_ieee_mode 1
		.amdhsa_fp16_overflow 0
		.amdhsa_tg_split 0
		.amdhsa_exception_fp_ieee_invalid_op 0
		.amdhsa_exception_fp_denorm_src 0
		.amdhsa_exception_fp_ieee_div_zero 0
		.amdhsa_exception_fp_ieee_overflow 0
		.amdhsa_exception_fp_ieee_underflow 0
		.amdhsa_exception_fp_ieee_inexact 0
		.amdhsa_exception_int_div_zero 0
	.end_amdhsa_kernel
	.section	.text._ZN7rocprim17ROCPRIM_304000_NS6detail18single_scan_kernelILb0ENS1_19wrapped_scan_configINS0_14default_configEN3c107complexIfEEEEPKS7_PS7_St4plusIS7_ES7_S7_EEvT1_mT4_T2_T3_,"axG",@progbits,_ZN7rocprim17ROCPRIM_304000_NS6detail18single_scan_kernelILb0ENS1_19wrapped_scan_configINS0_14default_configEN3c107complexIfEEEEPKS7_PS7_St4plusIS7_ES7_S7_EEvT1_mT4_T2_T3_,comdat
.Lfunc_end95:
	.size	_ZN7rocprim17ROCPRIM_304000_NS6detail18single_scan_kernelILb0ENS1_19wrapped_scan_configINS0_14default_configEN3c107complexIfEEEEPKS7_PS7_St4plusIS7_ES7_S7_EEvT1_mT4_T2_T3_, .Lfunc_end95-_ZN7rocprim17ROCPRIM_304000_NS6detail18single_scan_kernelILb0ENS1_19wrapped_scan_configINS0_14default_configEN3c107complexIfEEEEPKS7_PS7_St4plusIS7_ES7_S7_EEvT1_mT4_T2_T3_
                                        ; -- End function
	.section	.AMDGPU.csdata,"",@progbits
; Kernel info:
; codeLenInByte = 2752
; NumSgprs: 44
; NumVgprs: 76
; NumAgprs: 0
; TotalNumVgprs: 76
; ScratchSize: 0
; MemoryBound: 0
; FloatMode: 240
; IeeeMode: 1
; LDSByteSize: 30720 bytes/workgroup (compile time only)
; SGPRBlocks: 5
; VGPRBlocks: 9
; NumSGPRsForWavesPerEU: 44
; NumVGPRsForWavesPerEU: 76
; AccumOffset: 76
; Occupancy: 2
; WaveLimiterHint : 0
; COMPUTE_PGM_RSRC2:SCRATCH_EN: 0
; COMPUTE_PGM_RSRC2:USER_SGPR: 2
; COMPUTE_PGM_RSRC2:TRAP_HANDLER: 0
; COMPUTE_PGM_RSRC2:TGID_X_EN: 1
; COMPUTE_PGM_RSRC2:TGID_Y_EN: 0
; COMPUTE_PGM_RSRC2:TGID_Z_EN: 0
; COMPUTE_PGM_RSRC2:TIDIG_COMP_CNT: 0
; COMPUTE_PGM_RSRC3_GFX90A:ACCUM_OFFSET: 18
; COMPUTE_PGM_RSRC3_GFX90A:TG_SPLIT: 0
	.section	.text._ZN2at6native32tensor_kernel_scan_innermost_dimIN3c107complexIfEESt4plusIS4_EEEvPT_PKS7_jjjS7_T0_,"axG",@progbits,_ZN2at6native32tensor_kernel_scan_innermost_dimIN3c107complexIfEESt4plusIS4_EEEvPT_PKS7_jjjS7_T0_,comdat
	.protected	_ZN2at6native32tensor_kernel_scan_innermost_dimIN3c107complexIfEESt4plusIS4_EEEvPT_PKS7_jjjS7_T0_ ; -- Begin function _ZN2at6native32tensor_kernel_scan_innermost_dimIN3c107complexIfEESt4plusIS4_EEEvPT_PKS7_jjjS7_T0_
	.globl	_ZN2at6native32tensor_kernel_scan_innermost_dimIN3c107complexIfEESt4plusIS4_EEEvPT_PKS7_jjjS7_T0_
	.p2align	8
	.type	_ZN2at6native32tensor_kernel_scan_innermost_dimIN3c107complexIfEESt4plusIS4_EEEvPT_PKS7_jjjS7_T0_,@function
_ZN2at6native32tensor_kernel_scan_innermost_dimIN3c107complexIfEESt4plusIS4_EEEvPT_PKS7_jjjS7_T0_: ; @_ZN2at6native32tensor_kernel_scan_innermost_dimIN3c107complexIfEESt4plusIS4_EEEvPT_PKS7_jjjS7_T0_
; %bb.0:
	s_load_dwordx8 s[12:19], s[0:1], 0x0
	s_load_dwordx2 s[20:21], s[0:1], 0x20
	v_bfe_u32 v2, v0, 10, 10
	s_waitcnt lgkmcnt(0)
	s_lshl_b32 s3, 2, s18
	v_mul_lo_u32 v1, s3, v2
	s_mul_hi_u32 s4, s16, s17
	s_mov_b32 s22, s16
	v_lshl_add_u32 v18, v1, 3, 0
	s_cmp_lg_u32 s4, 0
	s_mov_b64 s[4:5], -1
	s_cbranch_scc1 .LBB96_26
; %bb.1:
	s_load_dword s6, s[0:1], 0x3c
	s_add_u32 s4, s0, 48
	s_addc_u32 s5, s1, 0
	s_waitcnt lgkmcnt(0)
	s_lshr_b32 s6, s6, 16
	s_mul_i32 s19, s2, s6
	s_cmp_ge_u32 s19, s16
	s_cbranch_scc1 .LBB96_25
; %bb.2:
	s_load_dword s28, s[4:5], 0x0
	s_lshl_b32 s23, 1, s18
	s_cmp_lg_u32 s17, 0
	v_and_b32_e32 v1, 0x3ff, v0
	s_cselect_b64 s[4:5], -1, 0
	v_lshl_add_u32 v3, v1, 3, v18
	s_lshl_b32 s7, s3, 3
	v_cndmask_b32_e64 v4, 0, 1, s[4:5]
	v_lshl_add_u32 v16, s23, 3, v3
	v_cmp_eq_u32_e64 s[8:9], 0, v1
	v_add3_u32 v17, v18, s7, -8
	s_waitcnt lgkmcnt(0)
	s_mul_i32 s28, s28, s6
	s_add_i32 s29, s18, 1
	v_cmp_ne_u32_e64 s[4:5], 1, v4
	v_mov_b32_e32 v5, 0
	s_branch .LBB96_4
.LBB96_3:                               ;   in Loop: Header=BB96_4 Depth=1
	s_add_i32 s19, s19, s28
	s_cmp_ge_u32 s19, s16
	s_cbranch_scc1 .LBB96_25
.LBB96_4:                               ; =>This Loop Header: Depth=1
                                        ;     Child Loop BB96_7 Depth 2
                                        ;       Child Loop BB96_16 Depth 3
	s_and_b64 vcc, exec, s[4:5]
	s_cbranch_vccnz .LBB96_3
; %bb.5:                                ;   in Loop: Header=BB96_4 Depth=1
	v_add_u32_e32 v10, s19, v2
	v_mul_lo_u32 v4, v10, s17
	v_lshlrev_b64 v[8:9], 3, v[4:5]
	v_lshl_add_u64 v[6:7], s[14:15], 0, v[8:9]
	v_lshl_add_u64 v[8:9], s[12:13], 0, v[8:9]
	v_cmp_gt_u32_e32 vcc, s16, v10
	v_cmp_le_u32_e64 s[6:7], s16, v10
	s_mov_b32 s30, 0
	v_mov_b64_e32 v[12:13], s[20:21]
	s_branch .LBB96_7
.LBB96_6:                               ;   in Loop: Header=BB96_7 Depth=2
	s_or_b64 exec, exec, s[24:25]
	ds_read_b64 v[12:13], v17
	s_add_i32 s30, s30, s3
	s_cmp_ge_u32 s30, s17
	s_waitcnt lgkmcnt(0)
	s_barrier
	s_cbranch_scc1 .LBB96_3
.LBB96_7:                               ;   Parent Loop BB96_4 Depth=1
                                        ; =>  This Loop Header: Depth=2
                                        ;       Child Loop BB96_16 Depth 3
	v_add_u32_e32 v4, s30, v1
	v_add_u32_e32 v10, s23, v4
	s_and_saveexec_b64 s[24:25], vcc
	s_cbranch_execz .LBB96_14
; %bb.8:                                ;   in Loop: Header=BB96_7 Depth=2
	v_cmp_gt_u32_e64 s[10:11], s17, v4
	v_mov_b64_e32 v[14:15], s[20:21]
	s_and_saveexec_b64 s[26:27], s[10:11]
	s_cbranch_execz .LBB96_10
; %bb.9:                                ;   in Loop: Header=BB96_7 Depth=2
	v_lshl_add_u64 v[14:15], v[4:5], 3, v[6:7]
	global_load_dwordx2 v[14:15], v[14:15], off
.LBB96_10:                              ;   in Loop: Header=BB96_7 Depth=2
	s_or_b64 exec, exec, s[26:27]
	s_waitcnt vmcnt(0)
	ds_write_b64 v3, v[14:15]
	v_cmp_gt_u32_e64 s[10:11], s17, v10
	v_mov_b64_e32 v[14:15], s[20:21]
	s_and_saveexec_b64 s[26:27], s[10:11]
	s_cbranch_execz .LBB96_12
; %bb.11:                               ;   in Loop: Header=BB96_7 Depth=2
	v_mov_b32_e32 v11, v5
	v_lshl_add_u64 v[14:15], v[10:11], 3, v[6:7]
	global_load_dwordx2 v[14:15], v[14:15], off
.LBB96_12:                              ;   in Loop: Header=BB96_7 Depth=2
	s_or_b64 exec, exec, s[26:27]
	s_waitcnt vmcnt(0)
	ds_write_b64 v16, v[14:15]
	s_and_b64 exec, exec, s[8:9]
	s_cbranch_execz .LBB96_14
; %bb.13:                               ;   in Loop: Header=BB96_7 Depth=2
	ds_read_b64 v[14:15], v18
	s_waitcnt lgkmcnt(0)
	v_pk_add_f32 v[12:13], v[12:13], v[14:15]
	ds_write_b64 v18, v[12:13]
.LBB96_14:                              ;   in Loop: Header=BB96_7 Depth=2
	s_or_b64 exec, exec, s[24:25]
	s_mov_b64 s[24:25], 0
	v_mov_b32_e32 v11, 0
	s_waitcnt lgkmcnt(0)
	s_barrier
	s_branch .LBB96_16
.LBB96_15:                              ;   in Loop: Header=BB96_16 Depth=3
	s_or_b64 exec, exec, s[10:11]
	v_cmp_eq_u32_e64 s[10:11], s29, v11
	s_or_b64 s[24:25], s[10:11], s[24:25]
	s_waitcnt lgkmcnt(0)
	s_barrier
	s_andn2_b64 exec, exec, s[24:25]
	s_cbranch_execz .LBB96_20
.LBB96_16:                              ;   Parent Loop BB96_4 Depth=1
                                        ;     Parent Loop BB96_7 Depth=2
                                        ; =>    This Inner Loop Header: Depth=3
	v_add_u32_e32 v12, 1, v11
	s_and_saveexec_b64 s[10:11], s[6:7]
	s_xor_b64 s[10:11], exec, s[10:11]
; %bb.17:                               ;   in Loop: Header=BB96_16 Depth=3
	v_add_u32_e32 v11, 1, v11
                                        ; implicit-def: $vgpr12
; %bb.18:                               ;   in Loop: Header=BB96_16 Depth=3
	s_andn2_saveexec_b64 s[10:11], s[10:11]
	s_cbranch_execz .LBB96_15
; %bb.19:                               ;   in Loop: Header=BB96_16 Depth=3
	v_lshlrev_b32_e64 v13, v11, 1
	v_lshrrev_b32_e32 v14, v11, v1
	v_lshl_or_b32 v13, v14, v12, v13
	v_bfm_b32 v11, v11, 0
	v_and_b32_e32 v11, v11, v1
	v_lshl_add_u32 v13, v13, 3, v18
	v_lshl_add_u32 v11, v11, 3, v13
	v_add_u32_e32 v13, -8, v13
	ds_read_b64 v[14:15], v11
	ds_read_b64 v[20:21], v13
	s_waitcnt lgkmcnt(0)
	v_pk_add_f32 v[14:15], v[20:21], v[14:15]
	ds_write_b64 v11, v[14:15]
	v_mov_b32_e32 v11, v12
	s_branch .LBB96_15
.LBB96_20:                              ;   in Loop: Header=BB96_7 Depth=2
	s_or_b64 exec, exec, s[24:25]
	s_and_saveexec_b64 s[24:25], vcc
	s_cbranch_execz .LBB96_6
; %bb.21:                               ;   in Loop: Header=BB96_7 Depth=2
	v_cmp_gt_u32_e64 s[10:11], s17, v4
	s_and_saveexec_b64 s[26:27], s[10:11]
	s_cbranch_execz .LBB96_23
; %bb.22:                               ;   in Loop: Header=BB96_7 Depth=2
	ds_read_b64 v[12:13], v3
	v_lshl_add_u64 v[14:15], v[4:5], 3, v[8:9]
	s_waitcnt lgkmcnt(0)
	global_store_dwordx2 v[14:15], v[12:13], off
.LBB96_23:                              ;   in Loop: Header=BB96_7 Depth=2
	s_or_b64 exec, exec, s[26:27]
	v_cmp_gt_u32_e64 s[10:11], s17, v10
	s_and_b64 exec, exec, s[10:11]
	s_cbranch_execz .LBB96_6
; %bb.24:                               ;   in Loop: Header=BB96_7 Depth=2
	ds_read_b64 v[12:13], v16
	v_mov_b32_e32 v11, v5
	v_lshl_add_u64 v[10:11], v[10:11], 3, v[8:9]
	s_waitcnt lgkmcnt(0)
	global_store_dwordx2 v[10:11], v[12:13], off
	s_branch .LBB96_6
.LBB96_25:
	s_mov_b64 s[4:5], 0
.LBB96_26:
	s_andn2_b64 vcc, exec, s[4:5]
	s_cbranch_vccnz .LBB96_53
; %bb.27:
	s_load_dword s3, s[0:1], 0x3c
	s_add_u32 s4, s0, 48
	s_mov_b32 s23, 0
	s_addc_u32 s5, s1, 0
	v_mov_b64_e32 v[4:5], s[22:23]
	s_waitcnt lgkmcnt(0)
	s_lshr_b32 s0, s3, 16
	s_mul_hi_u32 s9, s0, s2
	s_mul_i32 s8, s0, s2
	v_cmp_ge_u64_e32 vcc, s[8:9], v[4:5]
	s_cbranch_vccnz .LBB96_53
; %bb.28:
	s_lshl_b32 s10, 1, s18
	s_load_dword s4, s[4:5], 0x0
	s_and_b32 s6, 0xffff, s0
	s_ashr_i32 s11, s10, 31
	s_cmp_lg_u32 s17, 0
	s_mov_b32 s24, s17
	v_and_b32_e32 v0, 0x3ff, v0
	s_cselect_b64 s[2:3], -1, 0
	s_lshl_b64 s[16:17], s[10:11], 1
	v_mov_b32_e32 v3, 0
	v_lshl_add_u32 v19, v0, 3, v18
	s_lshl_b32 s5, s16, 3
	v_cndmask_b32_e64 v4, 0, 1, s[2:3]
	s_mov_b32 s25, s23
	v_mov_b32_e32 v1, v3
	v_lshl_add_u32 v20, s10, 3, v19
	v_cmp_eq_u32_e64 s[0:1], 0, v0
	v_add3_u32 v21, v18, s5, -8
	s_waitcnt lgkmcnt(0)
	s_mul_i32 s33, s4, s6
	s_add_i32 s34, s18, 1
	v_cmp_ne_u32_e64 s[2:3], 1, v4
	v_mov_b64_e32 v[4:5], s[22:23]
	s_branch .LBB96_30
.LBB96_29:                              ;   in Loop: Header=BB96_30 Depth=1
	s_add_u32 s8, s8, s33
	s_addc_u32 s9, s9, 0
	v_cmp_ge_u64_e32 vcc, s[8:9], v[4:5]
	s_cbranch_vccnz .LBB96_53
.LBB96_30:                              ; =>This Loop Header: Depth=1
                                        ;     Child Loop BB96_33 Depth 2
                                        ;       Child Loop BB96_43 Depth 3
	s_and_b64 vcc, exec, s[2:3]
	s_cbranch_vccnz .LBB96_29
; %bb.31:                               ;   in Loop: Header=BB96_30 Depth=1
	v_lshl_add_u64 v[10:11], s[8:9], 0, v[2:3]
	v_mad_u64_u32 v[6:7], s[4:5], v10, s24, 0
	v_mov_b32_e32 v8, v7
	v_mad_u64_u32 v[8:9], s[4:5], v11, s24, v[8:9]
	v_mov_b32_e32 v7, v8
	v_lshlrev_b64 v[8:9], 3, v[6:7]
	v_lshl_add_u64 v[6:7], s[14:15], 0, v[8:9]
	v_lshl_add_u64 v[8:9], s[12:13], 0, v[8:9]
	v_cmp_gt_u64_e64 s[4:5], s[22:23], v[10:11]
	v_cmp_le_u64_e64 s[6:7], s[22:23], v[10:11]
	s_mov_b64 s[18:19], 0
	v_mov_b64_e32 v[14:15], s[20:21]
	s_branch .LBB96_33
.LBB96_32:                              ;   in Loop: Header=BB96_33 Depth=2
	s_or_b64 exec, exec, s[26:27]
	ds_read_b64 v[14:15], v21
	s_add_u32 s18, s18, s16
	s_addc_u32 s19, s19, s17
	v_mov_b64_e32 v[10:11], s[24:25]
	v_cmp_ge_u64_e32 vcc, s[18:19], v[10:11]
	s_waitcnt lgkmcnt(0)
	s_barrier
	s_cbranch_vccnz .LBB96_29
.LBB96_33:                              ;   Parent Loop BB96_30 Depth=1
                                        ; =>  This Loop Header: Depth=2
                                        ;       Child Loop BB96_43 Depth 3
	v_lshl_add_u64 v[12:13], s[18:19], 0, v[0:1]
	v_lshl_add_u64 v[10:11], v[12:13], 0, s[10:11]
	s_and_saveexec_b64 s[26:27], s[4:5]
	s_cbranch_execz .LBB96_40
; %bb.34:                               ;   in Loop: Header=BB96_33 Depth=2
	v_cmp_gt_u64_e32 vcc, s[24:25], v[12:13]
	v_mov_b64_e32 v[16:17], s[20:21]
	s_and_saveexec_b64 s[28:29], vcc
	s_cbranch_execz .LBB96_36
; %bb.35:                               ;   in Loop: Header=BB96_33 Depth=2
	v_lshl_add_u64 v[16:17], v[12:13], 3, v[6:7]
	global_load_dwordx2 v[16:17], v[16:17], off
.LBB96_36:                              ;   in Loop: Header=BB96_33 Depth=2
	s_or_b64 exec, exec, s[28:29]
	s_waitcnt vmcnt(0)
	ds_write_b64 v19, v[16:17]
	v_cmp_gt_u64_e32 vcc, s[24:25], v[10:11]
	v_mov_b64_e32 v[16:17], s[20:21]
	s_and_saveexec_b64 s[28:29], vcc
	s_cbranch_execz .LBB96_38
; %bb.37:                               ;   in Loop: Header=BB96_33 Depth=2
	v_lshl_add_u64 v[16:17], v[10:11], 3, v[6:7]
	global_load_dwordx2 v[16:17], v[16:17], off
.LBB96_38:                              ;   in Loop: Header=BB96_33 Depth=2
	s_or_b64 exec, exec, s[28:29]
	s_waitcnt vmcnt(0)
	ds_write_b64 v20, v[16:17]
	s_and_b64 exec, exec, s[0:1]
	s_cbranch_execz .LBB96_40
; %bb.39:                               ;   in Loop: Header=BB96_33 Depth=2
	ds_read_b64 v[16:17], v18
	s_waitcnt lgkmcnt(0)
	v_pk_add_f32 v[14:15], v[14:15], v[16:17]
	ds_write_b64 v18, v[14:15]
.LBB96_40:                              ;   in Loop: Header=BB96_33 Depth=2
	s_or_b64 exec, exec, s[26:27]
	s_mov_b64 s[26:27], 0
	v_mov_b32_e32 v23, 0
	s_waitcnt lgkmcnt(0)
	s_barrier
	s_branch .LBB96_43
.LBB96_41:                              ;   in Loop: Header=BB96_43 Depth=3
	s_or_b64 exec, exec, s[30:31]
	v_lshrrev_b32_e32 v15, v23, v0
	v_lshl_or_b32 v14, v15, v22, v14
	v_lshl_add_u32 v14, v14, 3, v18
	v_lshl_add_u32 v23, v16, 3, v14
	v_add_u32_e32 v16, -8, v14
	ds_read_b64 v[14:15], v23
	ds_read_b64 v[16:17], v16
	s_waitcnt lgkmcnt(0)
	v_pk_add_f32 v[14:15], v[16:17], v[14:15]
	ds_write_b64 v23, v[14:15]
.LBB96_42:                              ;   in Loop: Header=BB96_43 Depth=3
	s_or_b64 exec, exec, s[28:29]
	v_cmp_eq_u32_e32 vcc, s34, v22
	s_or_b64 s[26:27], vcc, s[26:27]
	v_mov_b32_e32 v23, v22
	s_waitcnt lgkmcnt(0)
	s_barrier
	s_andn2_b64 exec, exec, s[26:27]
	s_cbranch_execz .LBB96_48
.LBB96_43:                              ;   Parent Loop BB96_30 Depth=1
                                        ;     Parent Loop BB96_33 Depth=2
                                        ; =>    This Inner Loop Header: Depth=3
	v_add_u32_e32 v22, 1, v23
	s_and_saveexec_b64 s[28:29], s[6:7]
	s_xor_b64 s[28:29], exec, s[28:29]
; %bb.44:                               ;   in Loop: Header=BB96_43 Depth=3
	v_add_u32_e32 v22, 1, v23
                                        ; implicit-def: $vgpr23
; %bb.45:                               ;   in Loop: Header=BB96_43 Depth=3
	s_andn2_saveexec_b64 s[28:29], s[28:29]
	s_cbranch_execz .LBB96_42
; %bb.46:                               ;   in Loop: Header=BB96_43 Depth=3
	v_lshlrev_b32_e64 v14, v23, 1
	v_ashrrev_i32_e32 v15, 31, v14
	v_cmp_ge_u64_e32 vcc, v[0:1], v[14:15]
	v_mov_b64_e32 v[16:17], v[0:1]
	s_and_saveexec_b64 s[30:31], vcc
	s_cbranch_execz .LBB96_41
; %bb.47:                               ;   in Loop: Header=BB96_43 Depth=3
	v_cvt_f32_u32_e32 v15, v14
	v_sub_u32_e32 v16, 0, v14
	v_rcp_iflag_f32_e32 v15, v15
	s_nop 0
	v_mul_f32_e32 v15, 0x4f7ffffe, v15
	v_cvt_u32_f32_e32 v15, v15
	v_mul_lo_u32 v16, v16, v15
	v_mul_hi_u32 v16, v15, v16
	v_add_u32_e32 v15, v15, v16
	v_mul_hi_u32 v15, v0, v15
	v_mul_lo_u32 v15, v15, v14
	v_sub_u32_e32 v15, v0, v15
	v_sub_u32_e32 v16, v15, v14
	v_cmp_ge_u32_e32 vcc, v15, v14
	s_nop 1
	v_cndmask_b32_e32 v15, v15, v16, vcc
	v_sub_u32_e32 v16, v15, v14
	v_cmp_ge_u32_e32 vcc, v15, v14
	s_nop 1
	v_cndmask_b32_e32 v16, v15, v16, vcc
	s_branch .LBB96_41
.LBB96_48:                              ;   in Loop: Header=BB96_33 Depth=2
	s_or_b64 exec, exec, s[26:27]
	s_and_saveexec_b64 s[26:27], s[4:5]
	s_cbranch_execz .LBB96_32
; %bb.49:                               ;   in Loop: Header=BB96_33 Depth=2
	v_cmp_gt_u64_e32 vcc, s[24:25], v[12:13]
	s_and_saveexec_b64 s[28:29], vcc
	s_cbranch_execz .LBB96_51
; %bb.50:                               ;   in Loop: Header=BB96_33 Depth=2
	ds_read_b64 v[14:15], v19
	v_lshl_add_u64 v[12:13], v[12:13], 3, v[8:9]
	s_waitcnt lgkmcnt(0)
	global_store_dwordx2 v[12:13], v[14:15], off
.LBB96_51:                              ;   in Loop: Header=BB96_33 Depth=2
	s_or_b64 exec, exec, s[28:29]
	v_cmp_gt_u64_e32 vcc, s[24:25], v[10:11]
	s_and_b64 exec, exec, vcc
	s_cbranch_execz .LBB96_32
; %bb.52:                               ;   in Loop: Header=BB96_33 Depth=2
	ds_read_b64 v[12:13], v20
	v_lshl_add_u64 v[10:11], v[10:11], 3, v[8:9]
	s_waitcnt lgkmcnt(0)
	global_store_dwordx2 v[10:11], v[12:13], off
	s_branch .LBB96_32
.LBB96_53:
	s_endpgm
	.section	.rodata,"a",@progbits
	.p2align	6, 0x0
	.amdhsa_kernel _ZN2at6native32tensor_kernel_scan_innermost_dimIN3c107complexIfEESt4plusIS4_EEEvPT_PKS7_jjjS7_T0_
		.amdhsa_group_segment_fixed_size 0
		.amdhsa_private_segment_fixed_size 0
		.amdhsa_kernarg_size 304
		.amdhsa_user_sgpr_count 2
		.amdhsa_user_sgpr_dispatch_ptr 0
		.amdhsa_user_sgpr_queue_ptr 0
		.amdhsa_user_sgpr_kernarg_segment_ptr 1
		.amdhsa_user_sgpr_dispatch_id 0
		.amdhsa_user_sgpr_kernarg_preload_length 0
		.amdhsa_user_sgpr_kernarg_preload_offset 0
		.amdhsa_user_sgpr_private_segment_size 0
		.amdhsa_uses_dynamic_stack 0
		.amdhsa_enable_private_segment 0
		.amdhsa_system_sgpr_workgroup_id_x 1
		.amdhsa_system_sgpr_workgroup_id_y 0
		.amdhsa_system_sgpr_workgroup_id_z 0
		.amdhsa_system_sgpr_workgroup_info 0
		.amdhsa_system_vgpr_workitem_id 1
		.amdhsa_next_free_vgpr 24
		.amdhsa_next_free_sgpr 35
		.amdhsa_accum_offset 24
		.amdhsa_reserve_vcc 1
		.amdhsa_float_round_mode_32 0
		.amdhsa_float_round_mode_16_64 0
		.amdhsa_float_denorm_mode_32 3
		.amdhsa_float_denorm_mode_16_64 3
		.amdhsa_dx10_clamp 1
		.amdhsa_ieee_mode 1
		.amdhsa_fp16_overflow 0
		.amdhsa_tg_split 0
		.amdhsa_exception_fp_ieee_invalid_op 0
		.amdhsa_exception_fp_denorm_src 0
		.amdhsa_exception_fp_ieee_div_zero 0
		.amdhsa_exception_fp_ieee_overflow 0
		.amdhsa_exception_fp_ieee_underflow 0
		.amdhsa_exception_fp_ieee_inexact 0
		.amdhsa_exception_int_div_zero 0
	.end_amdhsa_kernel
	.section	.text._ZN2at6native32tensor_kernel_scan_innermost_dimIN3c107complexIfEESt4plusIS4_EEEvPT_PKS7_jjjS7_T0_,"axG",@progbits,_ZN2at6native32tensor_kernel_scan_innermost_dimIN3c107complexIfEESt4plusIS4_EEEvPT_PKS7_jjjS7_T0_,comdat
.Lfunc_end96:
	.size	_ZN2at6native32tensor_kernel_scan_innermost_dimIN3c107complexIfEESt4plusIS4_EEEvPT_PKS7_jjjS7_T0_, .Lfunc_end96-_ZN2at6native32tensor_kernel_scan_innermost_dimIN3c107complexIfEESt4plusIS4_EEEvPT_PKS7_jjjS7_T0_
                                        ; -- End function
	.section	.AMDGPU.csdata,"",@progbits
; Kernel info:
; codeLenInByte = 1648
; NumSgprs: 41
; NumVgprs: 24
; NumAgprs: 0
; TotalNumVgprs: 24
; ScratchSize: 0
; MemoryBound: 0
; FloatMode: 240
; IeeeMode: 1
; LDSByteSize: 0 bytes/workgroup (compile time only)
; SGPRBlocks: 5
; VGPRBlocks: 2
; NumSGPRsForWavesPerEU: 41
; NumVGPRsForWavesPerEU: 24
; AccumOffset: 24
; Occupancy: 8
; WaveLimiterHint : 0
; COMPUTE_PGM_RSRC2:SCRATCH_EN: 0
; COMPUTE_PGM_RSRC2:USER_SGPR: 2
; COMPUTE_PGM_RSRC2:TRAP_HANDLER: 0
; COMPUTE_PGM_RSRC2:TGID_X_EN: 1
; COMPUTE_PGM_RSRC2:TGID_Y_EN: 0
; COMPUTE_PGM_RSRC2:TGID_Z_EN: 0
; COMPUTE_PGM_RSRC2:TIDIG_COMP_CNT: 1
; COMPUTE_PGM_RSRC3_GFX90A:ACCUM_OFFSET: 5
; COMPUTE_PGM_RSRC3_GFX90A:TG_SPLIT: 0
	.section	.text._ZN2at6native28tensor_kernel_scan_outer_dimIN3c107complexIfEEjSt4plusIS4_EEEvPT_PKS7_jjjS7_T1_,"axG",@progbits,_ZN2at6native28tensor_kernel_scan_outer_dimIN3c107complexIfEEjSt4plusIS4_EEEvPT_PKS7_jjjS7_T1_,comdat
	.protected	_ZN2at6native28tensor_kernel_scan_outer_dimIN3c107complexIfEEjSt4plusIS4_EEEvPT_PKS7_jjjS7_T1_ ; -- Begin function _ZN2at6native28tensor_kernel_scan_outer_dimIN3c107complexIfEEjSt4plusIS4_EEEvPT_PKS7_jjjS7_T1_
	.globl	_ZN2at6native28tensor_kernel_scan_outer_dimIN3c107complexIfEEjSt4plusIS4_EEEvPT_PKS7_jjjS7_T1_
	.p2align	8
	.type	_ZN2at6native28tensor_kernel_scan_outer_dimIN3c107complexIfEEjSt4plusIS4_EEEvPT_PKS7_jjjS7_T1_,@function
_ZN2at6native28tensor_kernel_scan_outer_dimIN3c107complexIfEEjSt4plusIS4_EEEvPT_PKS7_jjjS7_T1_: ; @_ZN2at6native28tensor_kernel_scan_outer_dimIN3c107complexIfEEjSt4plusIS4_EEEvPT_PKS7_jjjS7_T1_
; %bb.0:
	s_load_dwordx4 s[8:11], s[0:1], 0x10
	s_waitcnt lgkmcnt(0)
	s_cmp_ge_u32 s2, s8
	s_cbranch_scc1 .LBB97_9
; %bb.1:
	s_load_dword s11, s[0:1], 0x30
	s_load_dword s4, s[0:1], 0x3c
	s_load_dwordx4 s[12:15], s[0:1], 0x0
	s_load_dwordx2 s[6:7], s[0:1], 0x20
	s_add_u32 s16, s0, 48
	s_addc_u32 s17, s1, 0
	s_waitcnt lgkmcnt(0)
	s_and_b32 s28, s4, 0xffff
	s_mul_i32 s3, s3, s28
	s_cmp_lg_u32 s10, 0
	v_add_u32_e32 v6, s3, v0
	s_mul_i32 s3, s2, s10
	s_cselect_b64 s[4:5], -1, 0
	s_mov_b32 s19, 0
	s_mov_b32 s18, s9
	s_mul_i32 s22, s3, s9
	s_mul_i32 s3, s11, s10
	v_cndmask_b32_e64 v0, 0, 1, s[4:5]
	v_cmp_gt_u32_e64 s[0:1], s9, v6
	s_mul_i32 s3, s3, s9
	s_lshl_b64 s[20:21], s[18:19], 3
	v_cmp_ne_u32_e64 s[4:5], 1, v0
	v_mov_b32_e32 v1, 0
	s_mov_b32 s18, s22
	s_branch .LBB97_3
.LBB97_2:                               ;   in Loop: Header=BB97_3 Depth=1
	s_or_b64 exec, exec, s[22:23]
	s_add_i32 s2, s11, s2
	s_add_i32 s18, s18, s3
	s_cmp_ge_u32 s2, s8
	s_cbranch_scc1 .LBB97_9
.LBB97_3:                               ; =>This Loop Header: Depth=1
                                        ;     Child Loop BB97_6 Depth 2
                                        ;       Child Loop BB97_8 Depth 3
	s_and_saveexec_b64 s[22:23], s[0:1]
	s_cbranch_execz .LBB97_2
; %bb.4:                                ;   in Loop: Header=BB97_3 Depth=1
	s_load_dword s29, s[16:17], 0x4
	s_lshl_b64 s[24:25], s[18:19], 3
	s_mov_b64 s[26:27], 0
	v_mov_b32_e32 v0, v6
	s_waitcnt lgkmcnt(0)
	s_mul_i32 s29, s29, s28
	s_branch .LBB97_6
.LBB97_5:                               ;   in Loop: Header=BB97_6 Depth=2
	v_add_u32_e32 v0, s29, v0
	v_cmp_le_u32_e32 vcc, s9, v0
	s_or_b64 s[26:27], vcc, s[26:27]
	s_andn2_b64 exec, exec, s[26:27]
	s_cbranch_execz .LBB97_2
.LBB97_6:                               ;   Parent Loop BB97_3 Depth=1
                                        ; =>  This Loop Header: Depth=2
                                        ;       Child Loop BB97_8 Depth 3
	s_and_b64 vcc, exec, s[4:5]
	s_cbranch_vccnz .LBB97_5
; %bb.7:                                ;   in Loop: Header=BB97_6 Depth=2
	v_lshl_add_u64 v[2:3], v[0:1], 3, s[24:25]
	v_mov_b32_e32 v5, s7
	v_mov_b32_e32 v4, s6
	s_mov_b32 s30, s10
.LBB97_8:                               ;   Parent Loop BB97_3 Depth=1
                                        ;     Parent Loop BB97_6 Depth=2
                                        ; =>    This Inner Loop Header: Depth=3
	v_lshl_add_u64 v[8:9], s[14:15], 0, v[2:3]
	global_load_dwordx2 v[8:9], v[8:9], off
	s_add_i32 s30, s30, -1
	v_lshl_add_u64 v[10:11], s[12:13], 0, v[2:3]
	v_lshl_add_u64 v[2:3], v[2:3], 0, s[20:21]
	s_cmp_eq_u32 s30, 0
	s_waitcnt vmcnt(0)
	v_add_f32_e32 v4, v8, v4
	v_add_f32_e32 v5, v9, v5
	global_store_dwordx2 v[10:11], v[4:5], off
	s_cbranch_scc0 .LBB97_8
	s_branch .LBB97_5
.LBB97_9:
	s_endpgm
	.section	.rodata,"a",@progbits
	.p2align	6, 0x0
	.amdhsa_kernel _ZN2at6native28tensor_kernel_scan_outer_dimIN3c107complexIfEEjSt4plusIS4_EEEvPT_PKS7_jjjS7_T1_
		.amdhsa_group_segment_fixed_size 0
		.amdhsa_private_segment_fixed_size 0
		.amdhsa_kernarg_size 304
		.amdhsa_user_sgpr_count 2
		.amdhsa_user_sgpr_dispatch_ptr 0
		.amdhsa_user_sgpr_queue_ptr 0
		.amdhsa_user_sgpr_kernarg_segment_ptr 1
		.amdhsa_user_sgpr_dispatch_id 0
		.amdhsa_user_sgpr_kernarg_preload_length 0
		.amdhsa_user_sgpr_kernarg_preload_offset 0
		.amdhsa_user_sgpr_private_segment_size 0
		.amdhsa_uses_dynamic_stack 0
		.amdhsa_enable_private_segment 0
		.amdhsa_system_sgpr_workgroup_id_x 1
		.amdhsa_system_sgpr_workgroup_id_y 1
		.amdhsa_system_sgpr_workgroup_id_z 0
		.amdhsa_system_sgpr_workgroup_info 0
		.amdhsa_system_vgpr_workitem_id 0
		.amdhsa_next_free_vgpr 12
		.amdhsa_next_free_sgpr 31
		.amdhsa_accum_offset 12
		.amdhsa_reserve_vcc 1
		.amdhsa_float_round_mode_32 0
		.amdhsa_float_round_mode_16_64 0
		.amdhsa_float_denorm_mode_32 3
		.amdhsa_float_denorm_mode_16_64 3
		.amdhsa_dx10_clamp 1
		.amdhsa_ieee_mode 1
		.amdhsa_fp16_overflow 0
		.amdhsa_tg_split 0
		.amdhsa_exception_fp_ieee_invalid_op 0
		.amdhsa_exception_fp_denorm_src 0
		.amdhsa_exception_fp_ieee_div_zero 0
		.amdhsa_exception_fp_ieee_overflow 0
		.amdhsa_exception_fp_ieee_underflow 0
		.amdhsa_exception_fp_ieee_inexact 0
		.amdhsa_exception_int_div_zero 0
	.end_amdhsa_kernel
	.section	.text._ZN2at6native28tensor_kernel_scan_outer_dimIN3c107complexIfEEjSt4plusIS4_EEEvPT_PKS7_jjjS7_T1_,"axG",@progbits,_ZN2at6native28tensor_kernel_scan_outer_dimIN3c107complexIfEEjSt4plusIS4_EEEvPT_PKS7_jjjS7_T1_,comdat
.Lfunc_end97:
	.size	_ZN2at6native28tensor_kernel_scan_outer_dimIN3c107complexIfEEjSt4plusIS4_EEEvPT_PKS7_jjjS7_T1_, .Lfunc_end97-_ZN2at6native28tensor_kernel_scan_outer_dimIN3c107complexIfEEjSt4plusIS4_EEEvPT_PKS7_jjjS7_T1_
                                        ; -- End function
	.section	.AMDGPU.csdata,"",@progbits
; Kernel info:
; codeLenInByte = 332
; NumSgprs: 37
; NumVgprs: 12
; NumAgprs: 0
; TotalNumVgprs: 12
; ScratchSize: 0
; MemoryBound: 0
; FloatMode: 240
; IeeeMode: 1
; LDSByteSize: 0 bytes/workgroup (compile time only)
; SGPRBlocks: 4
; VGPRBlocks: 1
; NumSGPRsForWavesPerEU: 37
; NumVGPRsForWavesPerEU: 12
; AccumOffset: 12
; Occupancy: 8
; WaveLimiterHint : 0
; COMPUTE_PGM_RSRC2:SCRATCH_EN: 0
; COMPUTE_PGM_RSRC2:USER_SGPR: 2
; COMPUTE_PGM_RSRC2:TRAP_HANDLER: 0
; COMPUTE_PGM_RSRC2:TGID_X_EN: 1
; COMPUTE_PGM_RSRC2:TGID_Y_EN: 1
; COMPUTE_PGM_RSRC2:TGID_Z_EN: 0
; COMPUTE_PGM_RSRC2:TIDIG_COMP_CNT: 0
; COMPUTE_PGM_RSRC3_GFX90A:ACCUM_OFFSET: 2
; COMPUTE_PGM_RSRC3_GFX90A:TG_SPLIT: 0
	.section	.text._ZN2at6native28tensor_kernel_scan_outer_dimIN3c107complexIfEEmSt4plusIS4_EEEvPT_PKS7_jjjS7_T1_,"axG",@progbits,_ZN2at6native28tensor_kernel_scan_outer_dimIN3c107complexIfEEmSt4plusIS4_EEEvPT_PKS7_jjjS7_T1_,comdat
	.protected	_ZN2at6native28tensor_kernel_scan_outer_dimIN3c107complexIfEEmSt4plusIS4_EEEvPT_PKS7_jjjS7_T1_ ; -- Begin function _ZN2at6native28tensor_kernel_scan_outer_dimIN3c107complexIfEEmSt4plusIS4_EEEvPT_PKS7_jjjS7_T1_
	.globl	_ZN2at6native28tensor_kernel_scan_outer_dimIN3c107complexIfEEmSt4plusIS4_EEEvPT_PKS7_jjjS7_T1_
	.p2align	8
	.type	_ZN2at6native28tensor_kernel_scan_outer_dimIN3c107complexIfEEmSt4plusIS4_EEEvPT_PKS7_jjjS7_T1_,@function
_ZN2at6native28tensor_kernel_scan_outer_dimIN3c107complexIfEEmSt4plusIS4_EEEvPT_PKS7_jjjS7_T1_: ; @_ZN2at6native28tensor_kernel_scan_outer_dimIN3c107complexIfEEmSt4plusIS4_EEEvPT_PKS7_jjjS7_T1_
; %bb.0:
	s_load_dwordx4 s[8:11], s[0:1], 0x10
	s_waitcnt lgkmcnt(0)
	s_cmp_ge_u32 s2, s8
	s_cbranch_scc1 .LBB98_9
; %bb.1:
	s_load_dword s11, s[0:1], 0x30
	s_load_dword s4, s[0:1], 0x3c
	s_load_dwordx4 s[12:15], s[0:1], 0x0
	s_load_dwordx2 s[6:7], s[0:1], 0x20
	s_add_u32 s16, s0, 48
	s_addc_u32 s17, s1, 0
	s_waitcnt lgkmcnt(0)
	s_and_b32 s28, s4, 0xffff
	s_cmp_lg_u32 s10, 0
	s_mul_i32 s3, s3, s28
	s_cselect_b64 s[22:23], -1, 0
	v_add_u32_e32 v6, s3, v0
	s_mov_b32 s5, 0
	s_mov_b32 s4, s9
	s_mul_hi_u32 s19, s10, s9
	s_mul_i32 s18, s10, s9
	v_cndmask_b32_e64 v0, 0, 1, s[22:23]
	v_cmp_gt_u32_e64 s[0:1], s9, v6
	s_lshl_b64 s[18:19], s[18:19], 3
	s_lshl_b64 s[20:21], s[4:5], 3
	v_cmp_ne_u32_e64 s[4:5], 1, v0
	v_mov_b32_e32 v1, 0
	s_branch .LBB98_3
.LBB98_2:                               ;   in Loop: Header=BB98_3 Depth=1
	s_or_b64 exec, exec, s[22:23]
	s_add_i32 s2, s2, s11
	s_cmp_ge_u32 s2, s8
	s_cbranch_scc1 .LBB98_9
.LBB98_3:                               ; =>This Loop Header: Depth=1
                                        ;     Child Loop BB98_6 Depth 2
                                        ;       Child Loop BB98_8 Depth 3
	s_and_saveexec_b64 s[22:23], s[0:1]
	s_cbranch_execz .LBB98_2
; %bb.4:                                ;   in Loop: Header=BB98_3 Depth=1
	s_load_dword s3, s[16:17], 0x4
	s_mul_i32 s25, s19, s2
	s_mul_hi_u32 s26, s18, s2
	s_mul_i32 s24, s18, s2
	s_add_i32 s25, s26, s25
	s_waitcnt lgkmcnt(0)
	s_mul_i32 s3, s3, s28
	s_mov_b64 s[26:27], 0
	v_mov_b32_e32 v0, v6
	s_branch .LBB98_6
.LBB98_5:                               ;   in Loop: Header=BB98_6 Depth=2
	v_add_u32_e32 v0, s3, v0
	v_cmp_le_u32_e32 vcc, s9, v0
	s_or_b64 s[26:27], vcc, s[26:27]
	s_andn2_b64 exec, exec, s[26:27]
	s_cbranch_execz .LBB98_2
.LBB98_6:                               ;   Parent Loop BB98_3 Depth=1
                                        ; =>  This Loop Header: Depth=2
                                        ;       Child Loop BB98_8 Depth 3
	s_and_b64 vcc, exec, s[4:5]
	s_cbranch_vccnz .LBB98_5
; %bb.7:                                ;   in Loop: Header=BB98_6 Depth=2
	v_lshl_add_u64 v[2:3], v[0:1], 3, s[24:25]
	v_mov_b32_e32 v5, s7
	v_mov_b32_e32 v4, s6
	s_mov_b32 s29, s10
.LBB98_8:                               ;   Parent Loop BB98_3 Depth=1
                                        ;     Parent Loop BB98_6 Depth=2
                                        ; =>    This Inner Loop Header: Depth=3
	v_lshl_add_u64 v[8:9], s[14:15], 0, v[2:3]
	global_load_dwordx2 v[8:9], v[8:9], off
	s_add_i32 s29, s29, -1
	v_lshl_add_u64 v[10:11], s[12:13], 0, v[2:3]
	v_lshl_add_u64 v[2:3], v[2:3], 0, s[20:21]
	s_cmp_eq_u32 s29, 0
	s_waitcnt vmcnt(0)
	v_add_f32_e32 v4, v8, v4
	v_add_f32_e32 v5, v9, v5
	global_store_dwordx2 v[10:11], v[4:5], off
	s_cbranch_scc0 .LBB98_8
	s_branch .LBB98_5
.LBB98_9:
	s_endpgm
	.section	.rodata,"a",@progbits
	.p2align	6, 0x0
	.amdhsa_kernel _ZN2at6native28tensor_kernel_scan_outer_dimIN3c107complexIfEEmSt4plusIS4_EEEvPT_PKS7_jjjS7_T1_
		.amdhsa_group_segment_fixed_size 0
		.amdhsa_private_segment_fixed_size 0
		.amdhsa_kernarg_size 304
		.amdhsa_user_sgpr_count 2
		.amdhsa_user_sgpr_dispatch_ptr 0
		.amdhsa_user_sgpr_queue_ptr 0
		.amdhsa_user_sgpr_kernarg_segment_ptr 1
		.amdhsa_user_sgpr_dispatch_id 0
		.amdhsa_user_sgpr_kernarg_preload_length 0
		.amdhsa_user_sgpr_kernarg_preload_offset 0
		.amdhsa_user_sgpr_private_segment_size 0
		.amdhsa_uses_dynamic_stack 0
		.amdhsa_enable_private_segment 0
		.amdhsa_system_sgpr_workgroup_id_x 1
		.amdhsa_system_sgpr_workgroup_id_y 1
		.amdhsa_system_sgpr_workgroup_id_z 0
		.amdhsa_system_sgpr_workgroup_info 0
		.amdhsa_system_vgpr_workitem_id 0
		.amdhsa_next_free_vgpr 12
		.amdhsa_next_free_sgpr 30
		.amdhsa_accum_offset 12
		.amdhsa_reserve_vcc 1
		.amdhsa_float_round_mode_32 0
		.amdhsa_float_round_mode_16_64 0
		.amdhsa_float_denorm_mode_32 3
		.amdhsa_float_denorm_mode_16_64 3
		.amdhsa_dx10_clamp 1
		.amdhsa_ieee_mode 1
		.amdhsa_fp16_overflow 0
		.amdhsa_tg_split 0
		.amdhsa_exception_fp_ieee_invalid_op 0
		.amdhsa_exception_fp_denorm_src 0
		.amdhsa_exception_fp_ieee_div_zero 0
		.amdhsa_exception_fp_ieee_overflow 0
		.amdhsa_exception_fp_ieee_underflow 0
		.amdhsa_exception_fp_ieee_inexact 0
		.amdhsa_exception_int_div_zero 0
	.end_amdhsa_kernel
	.section	.text._ZN2at6native28tensor_kernel_scan_outer_dimIN3c107complexIfEEmSt4plusIS4_EEEvPT_PKS7_jjjS7_T1_,"axG",@progbits,_ZN2at6native28tensor_kernel_scan_outer_dimIN3c107complexIfEEmSt4plusIS4_EEEvPT_PKS7_jjjS7_T1_,comdat
.Lfunc_end98:
	.size	_ZN2at6native28tensor_kernel_scan_outer_dimIN3c107complexIfEEmSt4plusIS4_EEEvPT_PKS7_jjjS7_T1_, .Lfunc_end98-_ZN2at6native28tensor_kernel_scan_outer_dimIN3c107complexIfEEmSt4plusIS4_EEEvPT_PKS7_jjjS7_T1_
                                        ; -- End function
	.section	.AMDGPU.csdata,"",@progbits
; Kernel info:
; codeLenInByte = 332
; NumSgprs: 36
; NumVgprs: 12
; NumAgprs: 0
; TotalNumVgprs: 12
; ScratchSize: 0
; MemoryBound: 0
; FloatMode: 240
; IeeeMode: 1
; LDSByteSize: 0 bytes/workgroup (compile time only)
; SGPRBlocks: 4
; VGPRBlocks: 1
; NumSGPRsForWavesPerEU: 36
; NumVGPRsForWavesPerEU: 12
; AccumOffset: 12
; Occupancy: 8
; WaveLimiterHint : 0
; COMPUTE_PGM_RSRC2:SCRATCH_EN: 0
; COMPUTE_PGM_RSRC2:USER_SGPR: 2
; COMPUTE_PGM_RSRC2:TRAP_HANDLER: 0
; COMPUTE_PGM_RSRC2:TGID_X_EN: 1
; COMPUTE_PGM_RSRC2:TGID_Y_EN: 1
; COMPUTE_PGM_RSRC2:TGID_Z_EN: 0
; COMPUTE_PGM_RSRC2:TIDIG_COMP_CNT: 0
; COMPUTE_PGM_RSRC3_GFX90A:ACCUM_OFFSET: 2
; COMPUTE_PGM_RSRC3_GFX90A:TG_SPLIT: 0
	.section	.text._ZN2at4cuda3cub15calc_block_sumsILi512ELi16ELb0EN3c104HalfES4_EEvPKT2_PT3_li,"axG",@progbits,_ZN2at4cuda3cub15calc_block_sumsILi512ELi16ELb0EN3c104HalfES4_EEvPKT2_PT3_li,comdat
	.protected	_ZN2at4cuda3cub15calc_block_sumsILi512ELi16ELb0EN3c104HalfES4_EEvPKT2_PT3_li ; -- Begin function _ZN2at4cuda3cub15calc_block_sumsILi512ELi16ELb0EN3c104HalfES4_EEvPKT2_PT3_li
	.globl	_ZN2at4cuda3cub15calc_block_sumsILi512ELi16ELb0EN3c104HalfES4_EEvPKT2_PT3_li
	.p2align	8
	.type	_ZN2at4cuda3cub15calc_block_sumsILi512ELi16ELb0EN3c104HalfES4_EEvPKT2_PT3_li,@function
_ZN2at4cuda3cub15calc_block_sumsILi512ELi16ELb0EN3c104HalfES4_EEvPKT2_PT3_li: ; @_ZN2at4cuda3cub15calc_block_sumsILi512ELi16ELb0EN3c104HalfES4_EEvPKT2_PT3_li
; %bb.0:
	s_load_dword s14, s[0:1], 0x18
	s_load_dwordx2 s[4:5], s[0:1], 0x10
	s_waitcnt lgkmcnt(0)
	s_lshl_b32 s3, s14, 13
	s_ashr_i32 s6, s3, 31
	s_mul_hi_u32 s7, s3, s2
	s_mul_i32 s6, s6, s2
	s_add_i32 s11, s7, s6
	s_mul_i32 s10, s3, s2
	s_sub_u32 s8, s4, s10
	s_subb_u32 s9, s5, s11
	v_cmp_lt_i64_e64 s[4:5], s[8:9], 1
	s_and_b64 vcc, exec, s[4:5]
	s_cbranch_vccnz .LBB99_56
; %bb.1:
	s_load_dwordx4 s[4:7], s[0:1], 0x0
	s_cmp_gt_i32 s14, 0
	s_mov_b32 s3, 0
	s_cbranch_scc1 .LBB99_3
; %bb.2:
	s_mov_b64 s[0:1], -1
	v_mov_b32_e32 v3, s3
	s_cbranch_execz .LBB99_4
	s_branch .LBB99_53
.LBB99_3:
	s_mov_b64 s[0:1], 0
	v_mov_b32_e32 v3, s3
.LBB99_4:
	s_lshl_b64 s[10:11], s[10:11], 1
	v_lshrrev_b32_e32 v2, 5, v0
	s_waitcnt lgkmcnt(0)
	s_add_u32 s4, s4, s10
	v_and_b32_e32 v22, 30, v2
	v_lshlrev_b32_e32 v2, 1, v0
	v_mov_b32_e32 v3, 0
	s_addc_u32 s5, s5, s11
	v_lshl_add_u64 v[6:7], s[4:5], 0, v[2:3]
	v_mbcnt_lo_u32_b32 v2, -1, 0
	v_mbcnt_hi_u32_b32 v2, -1, v2
	v_bfrev_b32_e32 v23, 0.5
	v_add_u32_e32 v1, 0x200, v0
	v_or_b32_e32 v8, 0x400, v0
	v_add_u32_e32 v9, 0x600, v0
	v_or_b32_e32 v10, 0x800, v0
	;; [unrolled: 2-line block ×7, first 2 shown]
	v_add_u32_e32 v21, 0x1e00, v0
	v_cmp_gt_u32_e64 s[0:1], 64, v0
	v_mov_b64_e32 v[4:5], 0x2000
	s_mov_b64 s[4:5], 0x4000
	v_lshl_or_b32 v23, v2, 2, v23
	s_branch .LBB99_6
.LBB99_5:                               ;   in Loop: Header=BB99_6 Depth=1
	s_add_u32 s8, s8, 0xffffe000
	s_addc_u32 s9, s9, -1
	s_add_i32 s14, s14, -1
	s_cmp_eq_u32 s14, 0
	v_add_f16_e32 v3, v3, v24
	v_lshl_add_u64 v[6:7], v[6:7], 0, s[4:5]
	s_mov_b64 s[10:11], 0
	s_cselect_b64 s[12:13], -1, 0
	s_barrier
	s_andn2_b64 vcc, exec, s[12:13]
	s_cbranch_vccz .LBB99_52
.LBB99_6:                               ; =>This Inner Loop Header: Depth=1
	v_cmp_lt_i64_e32 vcc, s[8:9], v[4:5]
	s_mov_b64 s[10:11], -1
                                        ; implicit-def: $vgpr24
	s_cbranch_vccnz .LBB99_9
; %bb.7:                                ;   in Loop: Header=BB99_6 Depth=1
	s_and_b64 vcc, exec, s[10:11]
	s_cbranch_vccnz .LBB99_46
.LBB99_8:                               ;   in Loop: Header=BB99_6 Depth=1
	v_mov_b64_e32 v[26:27], 0x2001
	v_cmp_lt_i64_e32 vcc, s[8:9], v[26:27]
	s_cbranch_vccz .LBB99_5
	s_branch .LBB99_51
.LBB99_9:                               ;   in Loop: Header=BB99_6 Depth=1
	v_cmp_gt_u32_e32 vcc, s8, v0
	v_mov_b32_e32 v24, 0
	v_mov_b32_e32 v25, 0
	s_and_saveexec_b64 s[10:11], vcc
	s_cbranch_execz .LBB99_11
; %bb.10:                               ;   in Loop: Header=BB99_6 Depth=1
	global_load_ushort v25, v[6:7], off
.LBB99_11:                              ;   in Loop: Header=BB99_6 Depth=1
	s_or_b64 exec, exec, s[10:11]
	v_cmp_gt_u32_e32 vcc, s8, v1
	s_and_saveexec_b64 s[10:11], vcc
	s_cbranch_execz .LBB99_13
; %bb.12:                               ;   in Loop: Header=BB99_6 Depth=1
	global_load_ushort v24, v[6:7], off offset:1024
.LBB99_13:                              ;   in Loop: Header=BB99_6 Depth=1
	s_or_b64 exec, exec, s[10:11]
	v_cmp_gt_u32_e32 vcc, s8, v8
	v_mov_b32_e32 v26, 0
	v_mov_b32_e32 v27, 0
	s_and_saveexec_b64 s[10:11], vcc
	s_cbranch_execz .LBB99_15
; %bb.14:                               ;   in Loop: Header=BB99_6 Depth=1
	global_load_ushort v27, v[6:7], off offset:2048
.LBB99_15:                              ;   in Loop: Header=BB99_6 Depth=1
	s_or_b64 exec, exec, s[10:11]
	v_cmp_gt_u32_e32 vcc, s8, v9
	s_and_saveexec_b64 s[10:11], vcc
	s_cbranch_execz .LBB99_17
; %bb.16:                               ;   in Loop: Header=BB99_6 Depth=1
	global_load_ushort v26, v[6:7], off offset:3072
.LBB99_17:                              ;   in Loop: Header=BB99_6 Depth=1
	s_or_b64 exec, exec, s[10:11]
	v_cmp_gt_u32_e32 vcc, s8, v10
	v_mov_b32_e32 v28, 0
	v_mov_b32_e32 v29, 0
	s_and_saveexec_b64 s[10:11], vcc
	s_cbranch_execz .LBB99_19
; %bb.18:                               ;   in Loop: Header=BB99_6 Depth=1
	v_add_co_u32_e32 v30, vcc, 0x1000, v6
	s_nop 1
	v_addc_co_u32_e32 v31, vcc, 0, v7, vcc
	global_load_ushort v29, v[30:31], off
.LBB99_19:                              ;   in Loop: Header=BB99_6 Depth=1
	s_or_b64 exec, exec, s[10:11]
	v_cmp_gt_u32_e32 vcc, s8, v11
	s_and_saveexec_b64 s[10:11], vcc
	s_cbranch_execz .LBB99_21
; %bb.20:                               ;   in Loop: Header=BB99_6 Depth=1
	v_add_co_u32_e32 v30, vcc, 0x1000, v6
	s_nop 1
	v_addc_co_u32_e32 v31, vcc, 0, v7, vcc
	global_load_ushort v28, v[30:31], off offset:1024
.LBB99_21:                              ;   in Loop: Header=BB99_6 Depth=1
	s_or_b64 exec, exec, s[10:11]
	v_cmp_gt_u32_e32 vcc, s8, v12
	v_mov_b32_e32 v30, 0
	v_mov_b32_e32 v31, 0
	s_and_saveexec_b64 s[10:11], vcc
	s_cbranch_execz .LBB99_23
; %bb.22:                               ;   in Loop: Header=BB99_6 Depth=1
	v_add_co_u32_e32 v32, vcc, 0x1000, v6
	s_nop 1
	v_addc_co_u32_e32 v33, vcc, 0, v7, vcc
	global_load_ushort v31, v[32:33], off offset:2048
.LBB99_23:                              ;   in Loop: Header=BB99_6 Depth=1
	s_or_b64 exec, exec, s[10:11]
	v_cmp_gt_u32_e32 vcc, s8, v13
	s_and_saveexec_b64 s[10:11], vcc
	s_cbranch_execz .LBB99_25
; %bb.24:                               ;   in Loop: Header=BB99_6 Depth=1
	v_add_co_u32_e32 v32, vcc, 0x1000, v6
	s_nop 1
	v_addc_co_u32_e32 v33, vcc, 0, v7, vcc
	global_load_ushort v30, v[32:33], off offset:3072
.LBB99_25:                              ;   in Loop: Header=BB99_6 Depth=1
	s_or_b64 exec, exec, s[10:11]
	v_cmp_gt_u32_e32 vcc, s8, v14
	v_mov_b32_e32 v32, 0
	v_mov_b32_e32 v33, 0
	s_and_saveexec_b64 s[10:11], vcc
	s_cbranch_execz .LBB99_27
; %bb.26:                               ;   in Loop: Header=BB99_6 Depth=1
	v_add_co_u32_e32 v34, vcc, 0x2000, v6
	s_nop 1
	v_addc_co_u32_e32 v35, vcc, 0, v7, vcc
	global_load_ushort v33, v[34:35], off
.LBB99_27:                              ;   in Loop: Header=BB99_6 Depth=1
	s_or_b64 exec, exec, s[10:11]
	v_cmp_gt_u32_e32 vcc, s8, v15
	s_and_saveexec_b64 s[10:11], vcc
	s_cbranch_execz .LBB99_29
; %bb.28:                               ;   in Loop: Header=BB99_6 Depth=1
	v_add_co_u32_e32 v34, vcc, 0x2000, v6
	s_nop 1
	v_addc_co_u32_e32 v35, vcc, 0, v7, vcc
	global_load_ushort v32, v[34:35], off offset:1024
.LBB99_29:                              ;   in Loop: Header=BB99_6 Depth=1
	s_or_b64 exec, exec, s[10:11]
	v_cmp_gt_u32_e32 vcc, s8, v16
	v_mov_b32_e32 v34, 0
	v_mov_b32_e32 v35, 0
	s_and_saveexec_b64 s[10:11], vcc
	s_cbranch_execz .LBB99_31
; %bb.30:                               ;   in Loop: Header=BB99_6 Depth=1
	v_add_co_u32_e32 v36, vcc, 0x2000, v6
	s_nop 1
	v_addc_co_u32_e32 v37, vcc, 0, v7, vcc
	global_load_ushort v35, v[36:37], off offset:2048
.LBB99_31:                              ;   in Loop: Header=BB99_6 Depth=1
	s_or_b64 exec, exec, s[10:11]
	v_cmp_gt_u32_e32 vcc, s8, v17
	s_and_saveexec_b64 s[10:11], vcc
	s_cbranch_execz .LBB99_33
; %bb.32:                               ;   in Loop: Header=BB99_6 Depth=1
	v_add_co_u32_e32 v36, vcc, 0x2000, v6
	s_nop 1
	v_addc_co_u32_e32 v37, vcc, 0, v7, vcc
	global_load_ushort v34, v[36:37], off offset:3072
.LBB99_33:                              ;   in Loop: Header=BB99_6 Depth=1
	;; [unrolled: 44-line block ×3, first 2 shown]
	s_or_b64 exec, exec, s[10:11]
	s_waitcnt vmcnt(0)
	v_add_f16_e32 v24, v25, v24
	v_add_f16_e32 v24, v24, v27
	;; [unrolled: 1-line block ×15, first 2 shown]
	v_cmp_eq_u32_e32 vcc, 0, v2
	s_nop 0
	v_mov_b32_dpp v25, v24 quad_perm:[1,0,3,2] row_mask:0xf bank_mask:0xf
	v_add_f16_e32 v24, v24, v25
	s_barrier
	s_nop 0
	v_mov_b32_dpp v25, v24 quad_perm:[2,3,0,1] row_mask:0xf bank_mask:0xf
	v_add_f16_e32 v24, v24, v25
	s_nop 1
	v_mov_b32_dpp v25, v24 row_ror:4 row_mask:0xf bank_mask:0xf
	v_add_f16_e32 v24, v24, v25
	s_nop 1
	v_mov_b32_dpp v25, v24 row_ror:8 row_mask:0xf bank_mask:0xf
	v_add_f16_e32 v24, v24, v25
	s_nop 1
	v_mov_b32_dpp v25, v24 row_bcast:15 row_mask:0xf bank_mask:0xf
	v_add_f16_e32 v24, v24, v25
	s_nop 1
	v_mov_b32_dpp v25, v24 row_bcast:31 row_mask:0xf bank_mask:0xf
	v_add_f16_e32 v24, v24, v25
	ds_bpermute_b32 v24, v23, v24
	s_and_saveexec_b64 s[10:11], vcc
	s_cbranch_execz .LBB99_43
; %bb.42:                               ;   in Loop: Header=BB99_6 Depth=1
	s_waitcnt lgkmcnt(0)
	ds_write_b16 v22, v24
.LBB99_43:                              ;   in Loop: Header=BB99_6 Depth=1
	s_or_b64 exec, exec, s[10:11]
	s_waitcnt lgkmcnt(0)
	s_barrier
	s_and_saveexec_b64 s[10:11], s[0:1]
	s_cbranch_execz .LBB99_45
; %bb.44:                               ;   in Loop: Header=BB99_6 Depth=1
	v_and_b32_e32 v24, 7, v2
	v_lshlrev_b32_e32 v25, 1, v24
	ds_read_u16 v25, v25
	v_cmp_ne_u32_e32 vcc, 7, v24
	s_waitcnt lgkmcnt(0)
	v_and_b32_e32 v27, 0xffff, v25
	v_addc_co_u32_e32 v26, vcc, 0, v2, vcc
	v_lshlrev_b32_e32 v26, 2, v26
	ds_bpermute_b32 v26, v26, v27
	v_cmp_gt_u32_e32 vcc, 6, v24
	s_waitcnt lgkmcnt(0)
	v_add_f16_e32 v25, v25, v26
	v_cndmask_b32_e64 v27, 0, 1, vcc
	v_lshlrev_b32_e32 v27, 1, v27
	v_add_lshl_u32 v27, v27, v2, 2
	ds_bpermute_b32 v26, v27, v25
	v_cmp_gt_u32_e32 vcc, 4, v24
	s_waitcnt lgkmcnt(0)
	v_add_f16_e32 v25, v25, v26
	v_cndmask_b32_e64 v24, 0, 1, vcc
	v_lshlrev_b32_e32 v24, 2, v24
	v_add_lshl_u32 v24, v24, v2, 2
	ds_bpermute_b32 v24, v24, v25
	s_waitcnt lgkmcnt(0)
	v_add_f16_e32 v24, v25, v24
.LBB99_45:                              ;   in Loop: Header=BB99_6 Depth=1
	s_or_b64 exec, exec, s[10:11]
	s_branch .LBB99_8
.LBB99_46:                              ;   in Loop: Header=BB99_6 Depth=1
	global_load_ushort v28, v[6:7], off
	global_load_ushort v29, v[6:7], off offset:1024
	global_load_ushort v30, v[6:7], off offset:2048
	;; [unrolled: 1-line block ×3, first 2 shown]
	v_add_co_u32_e32 v24, vcc, 0x1000, v6
	s_nop 1
	v_addc_co_u32_e32 v25, vcc, 0, v7, vcc
	v_add_co_u32_e32 v26, vcc, 0x2000, v6
	s_nop 1
	v_addc_co_u32_e32 v27, vcc, 0, v7, vcc
	global_load_ushort v32, v[24:25], off
	global_load_ushort v33, v[24:25], off offset:1024
	global_load_ushort v34, v[24:25], off offset:2048
	;; [unrolled: 1-line block ×3, first 2 shown]
	global_load_ushort v36, v[26:27], off
	global_load_ushort v37, v[26:27], off offset:1024
	global_load_ushort v38, v[26:27], off offset:2048
	;; [unrolled: 1-line block ×3, first 2 shown]
	v_add_co_u32_e32 v24, vcc, 0x3000, v6
	s_nop 1
	v_addc_co_u32_e32 v25, vcc, 0, v7, vcc
	global_load_ushort v26, v[24:25], off
	global_load_ushort v27, v[24:25], off offset:1024
	global_load_ushort v40, v[24:25], off offset:2048
	;; [unrolled: 1-line block ×3, first 2 shown]
	v_cmp_eq_u32_e32 vcc, 0, v2
	s_barrier
	s_waitcnt vmcnt(14)
	v_add_f16_e32 v24, v28, v29
	s_waitcnt vmcnt(13)
	v_add_f16_e32 v24, v24, v30
	;; [unrolled: 2-line block ×15, first 2 shown]
	s_nop 1
	v_mov_b32_dpp v25, v24 quad_perm:[1,0,3,2] row_mask:0xf bank_mask:0xf
	v_add_f16_e32 v24, v24, v25
	s_nop 1
	v_mov_b32_dpp v25, v24 quad_perm:[2,3,0,1] row_mask:0xf bank_mask:0xf
	v_add_f16_e32 v24, v24, v25
	s_nop 1
	v_mov_b32_dpp v25, v24 row_ror:4 row_mask:0xf bank_mask:0xf
	v_add_f16_e32 v24, v24, v25
	s_nop 1
	v_mov_b32_dpp v25, v24 row_ror:8 row_mask:0xf bank_mask:0xf
	v_add_f16_e32 v24, v24, v25
	s_nop 1
	v_mov_b32_dpp v25, v24 row_bcast:15 row_mask:0xf bank_mask:0xf
	v_add_f16_e32 v24, v24, v25
	s_nop 1
	v_mov_b32_dpp v25, v24 row_bcast:31 row_mask:0xf bank_mask:0xf
	v_add_f16_e32 v24, v24, v25
	ds_bpermute_b32 v24, v23, v24
	s_and_saveexec_b64 s[10:11], vcc
	s_cbranch_execz .LBB99_48
; %bb.47:                               ;   in Loop: Header=BB99_6 Depth=1
	s_waitcnt lgkmcnt(0)
	ds_write_b16 v22, v24
.LBB99_48:                              ;   in Loop: Header=BB99_6 Depth=1
	s_or_b64 exec, exec, s[10:11]
	s_waitcnt lgkmcnt(0)
	s_barrier
	s_and_saveexec_b64 s[10:11], s[0:1]
	s_cbranch_execz .LBB99_50
; %bb.49:                               ;   in Loop: Header=BB99_6 Depth=1
	v_and_b32_e32 v24, 7, v2
	v_lshlrev_b32_e32 v25, 1, v24
	ds_read_u16 v25, v25
	v_cmp_ne_u32_e32 vcc, 7, v24
	s_waitcnt lgkmcnt(0)
	v_and_b32_e32 v27, 0xffff, v25
	v_addc_co_u32_e32 v26, vcc, 0, v2, vcc
	v_lshlrev_b32_e32 v26, 2, v26
	ds_bpermute_b32 v26, v26, v27
	v_cmp_gt_u32_e32 vcc, 6, v24
	s_waitcnt lgkmcnt(0)
	v_add_f16_e32 v25, v25, v26
	v_cndmask_b32_e64 v27, 0, 1, vcc
	v_lshlrev_b32_e32 v27, 1, v27
	v_add_lshl_u32 v27, v27, v2, 2
	ds_bpermute_b32 v26, v27, v25
	v_cmp_gt_u32_e32 vcc, 4, v24
	s_waitcnt lgkmcnt(0)
	v_add_f16_e32 v25, v25, v26
	v_cndmask_b32_e64 v24, 0, 1, vcc
	v_lshlrev_b32_e32 v24, 2, v24
	v_add_lshl_u32 v24, v24, v2, 2
	ds_bpermute_b32 v24, v24, v25
	s_waitcnt lgkmcnt(0)
	v_add_f16_e32 v24, v25, v24
.LBB99_50:                              ;   in Loop: Header=BB99_6 Depth=1
	s_or_b64 exec, exec, s[10:11]
	v_mov_b64_e32 v[26:27], 0x2001
	v_cmp_lt_i64_e32 vcc, s[8:9], v[26:27]
	s_cbranch_vccz .LBB99_5
.LBB99_51:
	s_mov_b64 s[10:11], -1
                                        ; implicit-def: $sgpr8_sgpr9
                                        ; implicit-def: $sgpr14
                                        ; implicit-def: $vgpr6_vgpr7
                                        ; implicit-def: $vgpr3
.LBB99_52:
	s_xor_b64 s[0:1], s[10:11], -1
.LBB99_53:
	s_and_b64 vcc, exec, s[0:1]
	s_cbranch_vccz .LBB99_56
; %bb.54:
	v_cmp_eq_u32_e32 vcc, 0, v0
	s_and_saveexec_b64 s[0:1], vcc
	s_cbranch_execz .LBB99_56
; %bb.55:
	s_lshl_b64 s[0:1], s[2:3], 1
	s_waitcnt lgkmcnt(0)
	s_add_u32 s0, s6, s0
	s_addc_u32 s1, s7, s1
	v_mov_b32_e32 v0, 0
	global_store_short v0, v3, s[0:1]
.LBB99_56:
	s_endpgm
	.section	.rodata,"a",@progbits
	.p2align	6, 0x0
	.amdhsa_kernel _ZN2at4cuda3cub15calc_block_sumsILi512ELi16ELb0EN3c104HalfES4_EEvPKT2_PT3_li
		.amdhsa_group_segment_fixed_size 16
		.amdhsa_private_segment_fixed_size 0
		.amdhsa_kernarg_size 28
		.amdhsa_user_sgpr_count 2
		.amdhsa_user_sgpr_dispatch_ptr 0
		.amdhsa_user_sgpr_queue_ptr 0
		.amdhsa_user_sgpr_kernarg_segment_ptr 1
		.amdhsa_user_sgpr_dispatch_id 0
		.amdhsa_user_sgpr_kernarg_preload_length 0
		.amdhsa_user_sgpr_kernarg_preload_offset 0
		.amdhsa_user_sgpr_private_segment_size 0
		.amdhsa_uses_dynamic_stack 0
		.amdhsa_enable_private_segment 0
		.amdhsa_system_sgpr_workgroup_id_x 1
		.amdhsa_system_sgpr_workgroup_id_y 0
		.amdhsa_system_sgpr_workgroup_id_z 0
		.amdhsa_system_sgpr_workgroup_info 0
		.amdhsa_system_vgpr_workitem_id 0
		.amdhsa_next_free_vgpr 42
		.amdhsa_next_free_sgpr 15
		.amdhsa_accum_offset 44
		.amdhsa_reserve_vcc 1
		.amdhsa_float_round_mode_32 0
		.amdhsa_float_round_mode_16_64 0
		.amdhsa_float_denorm_mode_32 3
		.amdhsa_float_denorm_mode_16_64 3
		.amdhsa_dx10_clamp 1
		.amdhsa_ieee_mode 1
		.amdhsa_fp16_overflow 0
		.amdhsa_tg_split 0
		.amdhsa_exception_fp_ieee_invalid_op 0
		.amdhsa_exception_fp_denorm_src 0
		.amdhsa_exception_fp_ieee_div_zero 0
		.amdhsa_exception_fp_ieee_overflow 0
		.amdhsa_exception_fp_ieee_underflow 0
		.amdhsa_exception_fp_ieee_inexact 0
		.amdhsa_exception_int_div_zero 0
	.end_amdhsa_kernel
	.section	.text._ZN2at4cuda3cub15calc_block_sumsILi512ELi16ELb0EN3c104HalfES4_EEvPKT2_PT3_li,"axG",@progbits,_ZN2at4cuda3cub15calc_block_sumsILi512ELi16ELb0EN3c104HalfES4_EEvPKT2_PT3_li,comdat
.Lfunc_end99:
	.size	_ZN2at4cuda3cub15calc_block_sumsILi512ELi16ELb0EN3c104HalfES4_EEvPKT2_PT3_li, .Lfunc_end99-_ZN2at4cuda3cub15calc_block_sumsILi512ELi16ELb0EN3c104HalfES4_EEvPKT2_PT3_li
                                        ; -- End function
	.section	.AMDGPU.csdata,"",@progbits
; Kernel info:
; codeLenInByte = 2084
; NumSgprs: 21
; NumVgprs: 42
; NumAgprs: 0
; TotalNumVgprs: 42
; ScratchSize: 0
; MemoryBound: 0
; FloatMode: 240
; IeeeMode: 1
; LDSByteSize: 16 bytes/workgroup (compile time only)
; SGPRBlocks: 2
; VGPRBlocks: 5
; NumSGPRsForWavesPerEU: 21
; NumVGPRsForWavesPerEU: 42
; AccumOffset: 44
; Occupancy: 8
; WaveLimiterHint : 1
; COMPUTE_PGM_RSRC2:SCRATCH_EN: 0
; COMPUTE_PGM_RSRC2:USER_SGPR: 2
; COMPUTE_PGM_RSRC2:TRAP_HANDLER: 0
; COMPUTE_PGM_RSRC2:TGID_X_EN: 1
; COMPUTE_PGM_RSRC2:TGID_Y_EN: 0
; COMPUTE_PGM_RSRC2:TGID_Z_EN: 0
; COMPUTE_PGM_RSRC2:TIDIG_COMP_CNT: 0
; COMPUTE_PGM_RSRC3_GFX90A:ACCUM_OFFSET: 10
; COMPUTE_PGM_RSRC3_GFX90A:TG_SPLIT: 0
	.section	.text._ZN2at4cuda3cub17final_scan_kernelILi512ELi16EN3c104HalfEEEvPKT1_PS5_S8_li,"axG",@progbits,_ZN2at4cuda3cub17final_scan_kernelILi512ELi16EN3c104HalfEEEvPKT1_PS5_S8_li,comdat
	.protected	_ZN2at4cuda3cub17final_scan_kernelILi512ELi16EN3c104HalfEEEvPKT1_PS5_S8_li ; -- Begin function _ZN2at4cuda3cub17final_scan_kernelILi512ELi16EN3c104HalfEEEvPKT1_PS5_S8_li
	.globl	_ZN2at4cuda3cub17final_scan_kernelILi512ELi16EN3c104HalfEEEvPKT1_PS5_S8_li
	.p2align	8
	.type	_ZN2at4cuda3cub17final_scan_kernelILi512ELi16EN3c104HalfEEEvPKT1_PS5_S8_li,@function
_ZN2at4cuda3cub17final_scan_kernelILi512ELi16EN3c104HalfEEEvPKT1_PS5_S8_li: ; @_ZN2at4cuda3cub17final_scan_kernelILi512ELi16EN3c104HalfEEEvPKT1_PS5_S8_li
; %bb.0:
	s_load_dword s33, s[0:1], 0x20
	s_load_dwordx8 s[36:43], s[0:1], 0x0
	s_waitcnt lgkmcnt(0)
	s_lshl_b32 s3, s33, 13
	s_ashr_i32 s4, s3, 31
	s_mul_hi_u32 s5, s3, s2
	s_mul_i32 s4, s4, s2
	s_add_i32 s31, s5, s4
	s_mul_i32 s30, s3, s2
	s_sub_u32 s44, s42, s30
	s_subb_u32 s45, s43, s31
	v_cmp_lt_i64_e64 s[4:5], s[44:45], 1
	s_and_b64 vcc, exec, s[4:5]
	s_cbranch_vccnz .LBB100_98
; %bb.1:
	v_cmp_gt_u32_e32 vcc, s2, v0
	v_mov_b32_e32 v4, 0
	v_lshlrev_b32_e32 v20, 1, v0
	s_and_saveexec_b64 s[4:5], vcc
	s_cbranch_execz .LBB100_3
; %bb.2:
	global_load_ushort v4, v20, s[40:41]
.LBB100_3:
	s_or_b64 exec, exec, s[4:5]
	s_load_dword s0, s[0:1], 0x34
	s_waitcnt lgkmcnt(0)
	s_and_b32 s3, s0, 0xffff
	v_add_u32_e32 v2, s3, v0
	v_cmp_gt_u32_e32 vcc, s2, v2
	s_and_saveexec_b64 s[0:1], vcc
	s_cbranch_execz .LBB100_7
; %bb.4:
	s_mov_b64 s[4:5], 0
	v_mov_b32_e32 v3, 0
.LBB100_5:                              ; =>This Inner Loop Header: Depth=1
	v_lshl_add_u64 v[6:7], v[2:3], 1, s[40:41]
	global_load_ushort v1, v[6:7], off
	v_add_u32_e32 v2, s3, v2
	v_cmp_le_u32_e32 vcc, s2, v2
	s_or_b64 s[4:5], vcc, s[4:5]
	s_waitcnt vmcnt(0)
	v_add_f16_e32 v4, v1, v4
	s_andn2_b64 exec, exec, s[4:5]
	s_cbranch_execnz .LBB100_5
; %bb.6:
	s_or_b64 exec, exec, s[4:5]
.LBB100_7:
	s_or_b64 exec, exec, s[0:1]
	s_waitcnt vmcnt(0)
	v_and_b32_e32 v2, 0xffff, v4
	v_mbcnt_lo_u32_b32 v1, -1, 0
	v_mbcnt_hi_u32_b32 v1, -1, v1
	v_mov_b32_dpp v2, v2 quad_perm:[1,0,3,2] row_mask:0xf bank_mask:0xf
	v_add_f16_e32 v2, v4, v2
	v_cmp_eq_u32_e64 s[0:1], 0, v1
	s_nop 0
	v_mov_b32_dpp v3, v2 quad_perm:[2,3,0,1] row_mask:0xf bank_mask:0xf
	v_add_f16_e32 v2, v2, v3
	s_nop 1
	v_mov_b32_dpp v3, v2 row_ror:4 row_mask:0xf bank_mask:0xf
	v_add_f16_e32 v2, v2, v3
	s_nop 1
	v_mov_b32_dpp v3, v2 row_ror:8 row_mask:0xf bank_mask:0xf
	v_add_f16_e32 v2, v2, v3
	s_nop 1
	v_mov_b32_dpp v3, v2 row_bcast:15 row_mask:0xf bank_mask:0xf
	v_add_f16_e32 v2, v2, v3
	s_nop 1
	v_mov_b32_dpp v3, v2 row_bcast:31 row_mask:0xf bank_mask:0xf
	v_add_f16_e32 v2, v2, v3
	v_bfrev_b32_e32 v3, 0.5
	v_lshl_or_b32 v3, v1, 2, v3
	ds_bpermute_b32 v21, v3, v2
	s_and_saveexec_b64 s[4:5], s[0:1]
	s_cbranch_execz .LBB100_9
; %bb.8:
	v_lshrrev_b32_e32 v2, 5, v0
	v_and_b32_e32 v2, 30, v2
	s_waitcnt lgkmcnt(0)
	ds_write_b16 v2, v21
.LBB100_9:
	s_or_b64 exec, exec, s[4:5]
	v_cmp_lt_u32_e64 s[34:35], 63, v0
	v_cmp_gt_u32_e64 s[4:5], 64, v0
	v_and_b32_e32 v2, 7, v1
	s_waitcnt lgkmcnt(0)
	s_barrier
	s_and_saveexec_b64 s[6:7], s[4:5]
	s_cbranch_execz .LBB100_11
; %bb.10:
	v_lshlrev_b32_e32 v3, 1, v2
	ds_read_u16 v3, v3
	v_cmp_ne_u32_e32 vcc, 7, v2
	s_waitcnt lgkmcnt(0)
	v_and_b32_e32 v5, 0xffff, v3
	v_addc_co_u32_e32 v4, vcc, 0, v1, vcc
	v_lshlrev_b32_e32 v4, 2, v4
	ds_bpermute_b32 v4, v4, v5
	v_cmp_gt_u32_e32 vcc, 6, v2
	s_waitcnt lgkmcnt(0)
	v_add_f16_e32 v3, v3, v4
	v_cndmask_b32_e64 v5, 0, 1, vcc
	v_lshlrev_b32_e32 v5, 1, v5
	v_add_lshl_u32 v5, v5, v1, 2
	ds_bpermute_b32 v4, v5, v3
	v_cmp_gt_u32_e32 vcc, 4, v2
	s_waitcnt lgkmcnt(0)
	v_add_f16_e32 v3, v3, v4
	v_cndmask_b32_e64 v5, 0, 1, vcc
	v_lshlrev_b32_e32 v5, 2, v5
	v_add_lshl_u32 v4, v5, v1, 2
	ds_bpermute_b32 v4, v4, v3
	s_waitcnt lgkmcnt(0)
	v_add_f16_e32 v21, v3, v4
.LBB100_11:
	s_or_b64 exec, exec, s[6:7]
	s_cmp_lt_i32 s33, 1
	s_barrier
	s_cbranch_scc1 .LBB100_98
; %bb.12:
	v_lshlrev_b32_e32 v3, 4, v0
	s_movk_i32 s3, 0x3c00
	v_and_or_b32 v22, v3, s3, v1
	v_lshrrev_b32_e32 v3, 5, v22
	v_add_u32_e32 v23, 64, v22
	v_and_b32_e32 v3, 0x1e2, v3
	v_add_lshl_u32 v38, v3, v22, 1
	v_lshrrev_b32_e32 v3, 5, v23
	v_or_b32_e32 v24, 0x80, v22
	v_and_b32_e32 v3, 0x1e6, v3
	v_add_lshl_u32 v39, v3, v23, 1
	v_lshrrev_b32_e32 v3, 5, v24
	v_add_u32_e32 v25, 0xc0, v22
	v_and_b32_e32 v3, 0x1e6, v3
	v_add_lshl_u32 v40, v3, v24, 1
	v_lshrrev_b32_e32 v3, 5, v25
	v_or_b32_e32 v26, 0x100, v22
	v_and_b32_e32 v3, 0x1ee, v3
	v_add_lshl_u32 v41, v3, v25, 1
	;; [unrolled: 8-line block ×7, first 2 shown]
	v_lshrrev_b32_e32 v3, 5, v36
	v_add_u32_e32 v37, 0x3c0, v22
	v_and_b32_e32 v3, 0x1fe, v3
	v_add_lshl_u32 v52, v3, v36, 1
	v_lshrrev_b32_e32 v3, 5, v37
	v_and_b32_e32 v3, 0x3fe, v3
	v_add_lshl_u32 v53, v3, v37, 1
	v_and_b32_e32 v3, 0x3c0, v0
	v_add_u16_e32 v5, v1, v3
	v_lshrrev_b16_e32 v5, 1, v5
	v_add_lshl_u32 v4, v1, v3, 4
	v_and_b32_e32 v5, 0x3fe, v5
	v_min_u32_e32 v3, 0x1c0, v3
	v_add_lshl_u32 v54, v5, v4, 1
	v_and_b32_e32 v4, 15, v1
	v_or_b32_e32 v3, 63, v3
	v_cmp_eq_u32_e64 s[6:7], 0, v4
	v_cmp_lt_u32_e64 s[8:9], 1, v4
	v_cmp_lt_u32_e64 s[10:11], 3, v4
	;; [unrolled: 1-line block ×3, first 2 shown]
	v_and_b32_e32 v4, 16, v1
	v_cmp_eq_u32_e64 s[18:19], v3, v0
	v_cmp_eq_u32_e64 s[22:23], 0, v2
	v_cmp_lt_u32_e64 s[24:25], 1, v2
	v_cmp_lt_u32_e64 s[26:27], 3, v2
	v_add_u32_e32 v2, -1, v1
	v_and_b32_e32 v3, 64, v1
	v_cmp_eq_u32_e64 s[14:15], 0, v4
	v_lshrrev_b32_e32 v4, 6, v0
	v_cmp_lt_i32_e32 vcc, v2, v3
	v_mov_b32_e32 v9, 0
	v_cmp_lt_u32_e64 s[16:17], 31, v1
	v_cmp_gt_u32_e64 s[20:21], 8, v0
	v_cndmask_b32_e32 v2, v2, v1, vcc
	v_cmp_eq_u32_e64 s[28:29], 0, v0
	v_lshlrev_b32_e32 v8, 1, v1
	v_lshlrev_b32_e32 v0, 11, v4
	v_mov_b32_e32 v1, v9
	s_mul_i32 s2, s2, s33
	v_lshlrev_b32_e32 v55, 1, v4
	v_lshl_add_u64 v[0:1], s[30:31], 1, v[0:1]
	s_lshl_b32 s2, s2, 13
	v_add_u32_e32 v56, -2, v55
	v_lshlrev_b32_e32 v57, 2, v2
	v_lshl_add_u64 v[12:13], s[36:37], 0, v[0:1]
	s_sub_i32 s40, s42, s2
	v_lshl_add_u64 v[16:17], s[38:39], 0, v[0:1]
	v_mov_b64_e32 v[10:11], 0x2000
	v_mov_b64_e32 v[14:15], 0x1fff
	s_mov_b32 s38, 0x5040100
	s_mov_b64 s[2:3], 0x4000
	s_branch .LBB100_14
.LBB100_13:                             ;   in Loop: Header=BB100_14 Depth=1
	s_add_u32 s44, s44, 0xffffe000
	s_addc_u32 s45, s45, -1
	s_add_i32 s33, s33, -1
	s_addk_i32 s40, 0xe000
	s_cmp_eq_u32 s33, 0
	v_lshl_add_u64 v[12:13], v[12:13], 0, s[2:3]
	v_lshl_add_u64 v[16:17], v[16:17], 0, s[2:3]
	s_cselect_b64 s[30:31], -1, 0
	s_waitcnt lgkmcnt(0)
	s_barrier
	s_andn2_b64 vcc, exec, s[30:31]
	s_cbranch_vccz .LBB100_98
.LBB100_14:                             ; =>This Inner Loop Header: Depth=1
	v_cmp_gt_i64_e32 vcc, s[44:45], v[14:15]
	s_mov_b64 s[36:37], -1
	v_cmp_gt_u32_e64 s[30:31], s40, v22
	s_cbranch_vccnz .LBB100_48
; %bb.15:                               ;   in Loop: Header=BB100_14 Depth=1
	v_lshl_add_u64 v[0:1], v[12:13], 0, v[8:9]
	v_mov_b32_e32 v2, 0
	v_mov_b32_e32 v3, 0
	s_and_saveexec_b64 s[36:37], s[30:31]
	s_cbranch_execz .LBB100_17
; %bb.16:                               ;   in Loop: Header=BB100_14 Depth=1
	global_load_ushort v3, v[0:1], off
.LBB100_17:                             ;   in Loop: Header=BB100_14 Depth=1
	s_or_b64 exec, exec, s[36:37]
	v_cmp_gt_u32_e32 vcc, s40, v23
	s_and_saveexec_b64 s[30:31], vcc
	s_cbranch_execz .LBB100_19
; %bb.18:                               ;   in Loop: Header=BB100_14 Depth=1
	global_load_ushort v2, v[0:1], off offset:128
.LBB100_19:                             ;   in Loop: Header=BB100_14 Depth=1
	s_or_b64 exec, exec, s[30:31]
	v_cmp_gt_u32_e32 vcc, s40, v24
	v_mov_b32_e32 v4, 0
	v_mov_b32_e32 v5, 0
	s_and_saveexec_b64 s[30:31], vcc
	s_cbranch_execz .LBB100_21
; %bb.20:                               ;   in Loop: Header=BB100_14 Depth=1
	global_load_ushort v5, v[0:1], off offset:256
.LBB100_21:                             ;   in Loop: Header=BB100_14 Depth=1
	s_or_b64 exec, exec, s[30:31]
	v_cmp_gt_u32_e32 vcc, s40, v25
	s_and_saveexec_b64 s[30:31], vcc
	s_cbranch_execz .LBB100_23
; %bb.22:                               ;   in Loop: Header=BB100_14 Depth=1
	global_load_ushort v4, v[0:1], off offset:384
.LBB100_23:                             ;   in Loop: Header=BB100_14 Depth=1
	s_or_b64 exec, exec, s[30:31]
	v_cmp_gt_u32_e32 vcc, s40, v26
	v_mov_b32_e32 v6, 0
	v_mov_b32_e32 v7, 0
	s_and_saveexec_b64 s[30:31], vcc
	s_cbranch_execz .LBB100_25
; %bb.24:                               ;   in Loop: Header=BB100_14 Depth=1
	global_load_ushort v7, v[0:1], off offset:512
.LBB100_25:                             ;   in Loop: Header=BB100_14 Depth=1
	;; [unrolled: 16-line block ×3, first 2 shown]
	s_or_b64 exec, exec, s[30:31]
	v_cmp_gt_u32_e32 vcc, s40, v29
	s_and_saveexec_b64 s[30:31], vcc
	s_cbranch_execz .LBB100_31
; %bb.30:                               ;   in Loop: Header=BB100_14 Depth=1
	global_load_ushort v18, v[0:1], off offset:896
.LBB100_31:                             ;   in Loop: Header=BB100_14 Depth=1
	s_or_b64 exec, exec, s[30:31]
	v_cmp_gt_u32_e32 vcc, s40, v30
	s_waitcnt lgkmcnt(0)
	v_mov_b32_e32 v58, 0
	v_mov_b32_e32 v59, 0
	s_and_saveexec_b64 s[30:31], vcc
	s_cbranch_execz .LBB100_33
; %bb.32:                               ;   in Loop: Header=BB100_14 Depth=1
	global_load_ushort v59, v[0:1], off offset:1024
.LBB100_33:                             ;   in Loop: Header=BB100_14 Depth=1
	s_or_b64 exec, exec, s[30:31]
	v_cmp_gt_u32_e32 vcc, s40, v31
	s_and_saveexec_b64 s[30:31], vcc
	s_cbranch_execz .LBB100_35
; %bb.34:                               ;   in Loop: Header=BB100_14 Depth=1
	global_load_ushort v58, v[0:1], off offset:1152
.LBB100_35:                             ;   in Loop: Header=BB100_14 Depth=1
	s_or_b64 exec, exec, s[30:31]
	v_cmp_gt_u32_e32 vcc, s40, v32
	v_mov_b32_e32 v60, 0
	v_mov_b32_e32 v61, 0
	s_and_saveexec_b64 s[30:31], vcc
	s_cbranch_execz .LBB100_37
; %bb.36:                               ;   in Loop: Header=BB100_14 Depth=1
	global_load_ushort v61, v[0:1], off offset:1280
.LBB100_37:                             ;   in Loop: Header=BB100_14 Depth=1
	s_or_b64 exec, exec, s[30:31]
	v_cmp_gt_u32_e32 vcc, s40, v33
	s_and_saveexec_b64 s[30:31], vcc
	s_cbranch_execz .LBB100_39
; %bb.38:                               ;   in Loop: Header=BB100_14 Depth=1
	global_load_ushort v60, v[0:1], off offset:1408
.LBB100_39:                             ;   in Loop: Header=BB100_14 Depth=1
	s_or_b64 exec, exec, s[30:31]
	v_cmp_gt_u32_e32 vcc, s40, v34
	;; [unrolled: 16-line block ×3, first 2 shown]
	v_mov_b32_e32 v64, 0
	v_mov_b32_e32 v65, 0
	s_and_saveexec_b64 s[30:31], vcc
	s_cbranch_execz .LBB100_45
; %bb.44:                               ;   in Loop: Header=BB100_14 Depth=1
	global_load_ushort v65, v[0:1], off offset:1792
.LBB100_45:                             ;   in Loop: Header=BB100_14 Depth=1
	s_or_b64 exec, exec, s[30:31]
	v_cmp_gt_u32_e32 vcc, s40, v37
	s_and_saveexec_b64 s[30:31], vcc
	s_cbranch_execz .LBB100_47
; %bb.46:                               ;   in Loop: Header=BB100_14 Depth=1
	global_load_ushort v64, v[0:1], off offset:1920
.LBB100_47:                             ;   in Loop: Header=BB100_14 Depth=1
	s_or_b64 exec, exec, s[30:31]
	s_mov_b64 s[36:37], 0
	s_waitcnt vmcnt(0)
	ds_write_b16 v38, v3
	ds_write_b16 v39, v2
	;; [unrolled: 1-line block ×16, first 2 shown]
	; wave barrier
.LBB100_48:                             ;   in Loop: Header=BB100_14 Depth=1
	s_and_b64 vcc, exec, s[36:37]
	s_cbranch_vccz .LBB100_50
; %bb.49:                               ;   in Loop: Header=BB100_14 Depth=1
	v_lshl_add_u64 v[0:1], v[12:13], 0, v[8:9]
	global_load_ushort v2, v[0:1], off
	global_load_ushort v3, v[0:1], off offset:128
	global_load_ushort v4, v[0:1], off offset:256
	;; [unrolled: 1-line block ×7, first 2 shown]
	s_waitcnt lgkmcnt(0)
	global_load_ushort v58, v[0:1], off offset:1024
	global_load_ushort v59, v[0:1], off offset:1152
	;; [unrolled: 1-line block ×7, first 2 shown]
	s_nop 0
	global_load_ushort v0, v[0:1], off offset:1920
	s_waitcnt vmcnt(15)
	ds_write_b16 v38, v2
	s_waitcnt vmcnt(14)
	ds_write_b16 v39, v3
	;; [unrolled: 2-line block ×16, first 2 shown]
	; wave barrier
.LBB100_50:                             ;   in Loop: Header=BB100_14 Depth=1
	ds_read_b128 v[4:7], v54
	ds_read_b128 v[0:3], v54 offset:16
	s_waitcnt lgkmcnt(0)
	s_barrier
	v_add_f16_sdwa v18, v4, v4 dst_sel:DWORD dst_unused:UNUSED_PAD src0_sel:DWORD src1_sel:WORD_1
	v_add_f16_e32 v18, v18, v5
	v_add_f16_sdwa v18, v18, v5 dst_sel:DWORD dst_unused:UNUSED_PAD src0_sel:DWORD src1_sel:WORD_1
	v_add_f16_e32 v18, v18, v6
	;; [unrolled: 2-line block ×7, first 2 shown]
	v_add_f16_sdwa v18, v18, v3 dst_sel:DWORD dst_unused:UNUSED_PAD src0_sel:DWORD src1_sel:WORD_1
	s_nop 1
	v_mov_b32_dpp v19, v18 row_shr:1 row_mask:0xf bank_mask:0xf
	v_add_f16_e32 v19, v18, v19
	v_cndmask_b32_e64 v18, v19, v18, s[6:7]
	v_and_b32_e32 v19, 0xffff, v18
	s_nop 1
	v_mov_b32_dpp v19, v19 row_shr:2 row_mask:0xf bank_mask:0xf
	v_add_f16_e32 v19, v18, v19
	v_cndmask_b32_e64 v18, v18, v19, s[8:9]
	v_and_b32_e32 v19, 0xffff, v18
	s_nop 1
	v_mov_b32_dpp v19, v19 row_shr:4 row_mask:0xf bank_mask:0xf
	v_add_f16_e32 v19, v18, v19
	v_cndmask_b32_e64 v18, v18, v19, s[10:11]
	v_and_b32_e32 v19, 0xffff, v18
	s_nop 1
	v_mov_b32_dpp v19, v19 row_shr:8 row_mask:0xf bank_mask:0xf
	v_add_f16_e32 v19, v18, v19
	v_cndmask_b32_e64 v18, v18, v19, s[12:13]
	v_and_b32_e32 v19, 0xffff, v18
	s_nop 1
	v_mov_b32_dpp v19, v19 row_bcast:15 row_mask:0xf bank_mask:0xf
	v_add_f16_e32 v19, v18, v19
	v_cndmask_b32_e64 v18, v19, v18, s[14:15]
	v_and_b32_e32 v19, 0xffff, v18
	s_nop 1
	v_mov_b32_dpp v19, v19 row_bcast:31 row_mask:0xf bank_mask:0xf
	v_add_f16_e32 v19, v18, v19
	v_cndmask_b32_e64 v18, v18, v19, s[16:17]
	s_and_saveexec_b64 s[30:31], s[18:19]
	s_cbranch_execz .LBB100_52
; %bb.51:                               ;   in Loop: Header=BB100_14 Depth=1
	ds_write_b16 v55, v18
.LBB100_52:                             ;   in Loop: Header=BB100_14 Depth=1
	s_or_b64 exec, exec, s[30:31]
	s_waitcnt lgkmcnt(0)
	s_barrier
	s_and_saveexec_b64 s[30:31], s[20:21]
	s_cbranch_execz .LBB100_54
; %bb.53:                               ;   in Loop: Header=BB100_14 Depth=1
	ds_read_u16 v19, v20
	s_waitcnt lgkmcnt(0)
	v_and_b32_e32 v58, 0xffff, v19
	s_nop 1
	v_mov_b32_dpp v58, v58 row_shr:1 row_mask:0xf bank_mask:0xf
	v_add_f16_e32 v58, v19, v58
	v_cndmask_b32_e64 v19, v58, v19, s[22:23]
	v_and_b32_e32 v58, 0xffff, v19
	s_nop 1
	v_mov_b32_dpp v58, v58 row_shr:2 row_mask:0xf bank_mask:0xf
	v_add_f16_e32 v58, v19, v58
	v_cndmask_b32_e64 v19, v19, v58, s[24:25]
	;; [unrolled: 5-line block ×3, first 2 shown]
	ds_write_b16 v20, v19
.LBB100_54:                             ;   in Loop: Header=BB100_14 Depth=1
	s_or_b64 exec, exec, s[30:31]
	s_waitcnt lgkmcnt(0)
	s_barrier
	s_waitcnt lgkmcnt(0)
                                        ; implicit-def: $vgpr19
	s_and_saveexec_b64 s[30:31], s[34:35]
	s_cbranch_execz .LBB100_56
; %bb.55:                               ;   in Loop: Header=BB100_14 Depth=1
	ds_read_u16 v19, v56
	s_waitcnt lgkmcnt(0)
	v_add_f16_e32 v18, v18, v19
.LBB100_56:                             ;   in Loop: Header=BB100_14 Depth=1
	s_or_b64 exec, exec, s[30:31]
	v_and_b32_e32 v18, 0xffff, v18
	ds_bpermute_b32 v18, v57, v18
	s_and_saveexec_b64 s[30:31], s[4:5]
	s_cbranch_execz .LBB100_60
; %bb.57:                               ;   in Loop: Header=BB100_14 Depth=1
	ds_read_u16 v58, v9 offset:14
	s_and_saveexec_b64 s[36:37], s[28:29]
	s_cbranch_execz .LBB100_59
; %bb.58:                               ;   in Loop: Header=BB100_14 Depth=1
	ds_write_b16 v9, v21 offset:14
.LBB100_59:                             ;   in Loop: Header=BB100_14 Depth=1
	s_or_b64 exec, exec, s[36:37]
	s_waitcnt lgkmcnt(0)
	v_add_f16_e32 v21, v58, v21
.LBB100_60:                             ;   in Loop: Header=BB100_14 Depth=1
	s_or_b64 exec, exec, s[30:31]
	s_waitcnt lgkmcnt(0)
	s_barrier
	ds_read_u16 v58, v9 offset:14
	v_cndmask_b32_e64 v18, v18, v19, s[0:1]
	v_add_f16_e32 v18, v4, v18
	v_cndmask_b32_e64 v18, v18, v4, s[28:29]
	v_cmp_lt_i64_e32 vcc, s[44:45], v[10:11]
	s_waitcnt lgkmcnt(0)
	v_add_f16_e32 v18, v58, v18
	v_add_f16_sdwa v4, v4, v18 dst_sel:DWORD dst_unused:UNUSED_PAD src0_sel:WORD_1 src1_sel:DWORD
	v_add_f16_e32 v19, v4, v5
	v_add_f16_sdwa v5, v19, v5 dst_sel:DWORD dst_unused:UNUSED_PAD src0_sel:DWORD src1_sel:WORD_1
	v_add_f16_e32 v58, v5, v6
	v_add_f16_sdwa v6, v58, v6 dst_sel:DWORD dst_unused:UNUSED_PAD src0_sel:DWORD src1_sel:WORD_1
	;; [unrolled: 2-line block ×7, first 2 shown]
	s_and_b64 vcc, exec, vcc
	v_perm_b32 v7, v7, v59, s38
	v_perm_b32 v6, v6, v58, s38
	;; [unrolled: 1-line block ×8, first 2 shown]
	v_lshl_add_u64 v[18:19], v[16:17], 0, v[8:9]
	s_barrier
	s_cbranch_vccz .LBB100_83
; %bb.61:                               ;   in Loop: Header=BB100_14 Depth=1
	ds_write_b128 v54, v[4:7]
	ds_write_b128 v54, v[0:3] offset:16
	; wave barrier
	ds_read_u16 v72, v39
	ds_read_u16 v71, v40
	;; [unrolled: 1-line block ×15, first 2 shown]
	v_cmp_gt_u32_e32 vcc, s40, v22
	s_and_saveexec_b64 s[30:31], vcc
	s_cbranch_execnz .LBB100_84
; %bb.62:                               ;   in Loop: Header=BB100_14 Depth=1
	s_or_b64 exec, exec, s[30:31]
	v_cmp_gt_u32_e32 vcc, s40, v23
	s_and_saveexec_b64 s[30:31], vcc
	s_cbranch_execnz .LBB100_85
.LBB100_63:                             ;   in Loop: Header=BB100_14 Depth=1
	s_or_b64 exec, exec, s[30:31]
	v_cmp_gt_u32_e32 vcc, s40, v24
	s_and_saveexec_b64 s[30:31], vcc
	s_cbranch_execnz .LBB100_86
.LBB100_64:                             ;   in Loop: Header=BB100_14 Depth=1
	s_or_b64 exec, exec, s[30:31]
	v_cmp_gt_u32_e32 vcc, s40, v25
	s_and_saveexec_b64 s[30:31], vcc
	s_cbranch_execnz .LBB100_87
.LBB100_65:                             ;   in Loop: Header=BB100_14 Depth=1
	s_or_b64 exec, exec, s[30:31]
	v_cmp_gt_u32_e32 vcc, s40, v26
	s_and_saveexec_b64 s[30:31], vcc
	s_cbranch_execnz .LBB100_88
.LBB100_66:                             ;   in Loop: Header=BB100_14 Depth=1
	s_or_b64 exec, exec, s[30:31]
	v_cmp_gt_u32_e32 vcc, s40, v27
	s_and_saveexec_b64 s[30:31], vcc
	s_cbranch_execnz .LBB100_89
.LBB100_67:                             ;   in Loop: Header=BB100_14 Depth=1
	s_or_b64 exec, exec, s[30:31]
	v_cmp_gt_u32_e32 vcc, s40, v28
	s_and_saveexec_b64 s[30:31], vcc
	s_cbranch_execnz .LBB100_90
.LBB100_68:                             ;   in Loop: Header=BB100_14 Depth=1
	s_or_b64 exec, exec, s[30:31]
	v_cmp_gt_u32_e32 vcc, s40, v29
	s_and_saveexec_b64 s[30:31], vcc
	s_cbranch_execnz .LBB100_91
.LBB100_69:                             ;   in Loop: Header=BB100_14 Depth=1
	s_or_b64 exec, exec, s[30:31]
	v_cmp_gt_u32_e32 vcc, s40, v30
	s_and_saveexec_b64 s[30:31], vcc
	s_cbranch_execnz .LBB100_92
.LBB100_70:                             ;   in Loop: Header=BB100_14 Depth=1
	s_or_b64 exec, exec, s[30:31]
	v_cmp_gt_u32_e32 vcc, s40, v31
	s_and_saveexec_b64 s[30:31], vcc
	s_cbranch_execnz .LBB100_93
.LBB100_71:                             ;   in Loop: Header=BB100_14 Depth=1
	s_or_b64 exec, exec, s[30:31]
	v_cmp_gt_u32_e32 vcc, s40, v32
	s_and_saveexec_b64 s[30:31], vcc
	s_cbranch_execnz .LBB100_94
.LBB100_72:                             ;   in Loop: Header=BB100_14 Depth=1
	s_or_b64 exec, exec, s[30:31]
	v_cmp_gt_u32_e32 vcc, s40, v33
	s_and_saveexec_b64 s[30:31], vcc
	s_cbranch_execnz .LBB100_95
.LBB100_73:                             ;   in Loop: Header=BB100_14 Depth=1
	s_or_b64 exec, exec, s[30:31]
	v_cmp_gt_u32_e32 vcc, s40, v34
	s_and_saveexec_b64 s[30:31], vcc
	s_cbranch_execnz .LBB100_96
.LBB100_74:                             ;   in Loop: Header=BB100_14 Depth=1
	s_or_b64 exec, exec, s[30:31]
	v_cmp_gt_u32_e32 vcc, s40, v35
	s_and_saveexec_b64 s[30:31], vcc
	s_cbranch_execnz .LBB100_97
.LBB100_75:                             ;   in Loop: Header=BB100_14 Depth=1
	s_or_b64 exec, exec, s[30:31]
	v_cmp_gt_u32_e32 vcc, s40, v36
	s_and_saveexec_b64 s[30:31], vcc
	s_cbranch_execz .LBB100_77
.LBB100_76:                             ;   in Loop: Header=BB100_14 Depth=1
	s_waitcnt lgkmcnt(1)
	global_store_short v[18:19], v59, off offset:1792
.LBB100_77:                             ;   in Loop: Header=BB100_14 Depth=1
	s_or_b64 exec, exec, s[30:31]
	v_cmp_gt_u32_e64 s[30:31], s40, v37
	s_branch .LBB100_79
.LBB100_78:                             ;   in Loop: Header=BB100_14 Depth=1
	ds_write_b128 v54, v[4:7]
	ds_write_b128 v54, v[0:3] offset:16
	; wave barrier
	ds_read_u16 v0, v38
	ds_read_u16 v1, v39
	;; [unrolled: 1-line block ×8, first 2 shown]
	s_waitcnt lgkmcnt(11)
	ds_read_u16 v59, v46
	ds_read_u16 v60, v47
	;; [unrolled: 1-line block ×7, first 2 shown]
	s_waitcnt lgkmcnt(14)
	ds_read_u16 v58, v53
	s_or_b64 s[30:31], s[30:31], exec
	global_store_short v[18:19], v0, off
	s_waitcnt lgkmcnt(14)
	global_store_short v[18:19], v1, off offset:128
	s_waitcnt lgkmcnt(13)
	global_store_short v[18:19], v2, off offset:256
	;; [unrolled: 2-line block ×14, first 2 shown]
.LBB100_79:                             ;   in Loop: Header=BB100_14 Depth=1
	s_and_saveexec_b64 s[36:37], s[30:31]
	s_cbranch_execz .LBB100_81
; %bb.80:                               ;   in Loop: Header=BB100_14 Depth=1
	s_waitcnt lgkmcnt(0)
	global_store_short v[18:19], v58, off offset:1920
.LBB100_81:                             ;   in Loop: Header=BB100_14 Depth=1
	s_or_b64 exec, exec, s[36:37]
	v_mov_b64_e32 v[0:1], 0x2001
	v_cmp_lt_i64_e32 vcc, s[44:45], v[0:1]
	s_cbranch_vccz .LBB100_13
; %bb.82:
                                        ; implicit-def: $vgpr21
                                        ; implicit-def: $sgpr44_sgpr45
                                        ; implicit-def: $sgpr33
                                        ; implicit-def: $vgpr12_vgpr13
                                        ; implicit-def: $sgpr40
                                        ; implicit-def: $vgpr16_vgpr17
	s_branch .LBB100_98
.LBB100_83:                             ;   in Loop: Header=BB100_14 Depth=1
	s_mov_b64 s[30:31], 0
                                        ; implicit-def: $vgpr58
	s_cbranch_execnz .LBB100_78
	s_branch .LBB100_79
.LBB100_84:                             ;   in Loop: Header=BB100_14 Depth=1
	ds_read_u16 v73, v38
	s_waitcnt lgkmcnt(0)
	global_store_short v[18:19], v73, off
	s_or_b64 exec, exec, s[30:31]
	v_cmp_gt_u32_e32 vcc, s40, v23
	s_and_saveexec_b64 s[30:31], vcc
	s_cbranch_execz .LBB100_63
.LBB100_85:                             ;   in Loop: Header=BB100_14 Depth=1
	s_waitcnt lgkmcnt(14)
	global_store_short v[18:19], v72, off offset:128
	s_or_b64 exec, exec, s[30:31]
	v_cmp_gt_u32_e32 vcc, s40, v24
	s_and_saveexec_b64 s[30:31], vcc
	s_cbranch_execz .LBB100_64
.LBB100_86:                             ;   in Loop: Header=BB100_14 Depth=1
	s_waitcnt lgkmcnt(13)
	global_store_short v[18:19], v71, off offset:256
	s_or_b64 exec, exec, s[30:31]
	v_cmp_gt_u32_e32 vcc, s40, v25
	s_and_saveexec_b64 s[30:31], vcc
	s_cbranch_execz .LBB100_65
.LBB100_87:                             ;   in Loop: Header=BB100_14 Depth=1
	s_waitcnt lgkmcnt(12)
	global_store_short v[18:19], v70, off offset:384
	s_or_b64 exec, exec, s[30:31]
	v_cmp_gt_u32_e32 vcc, s40, v26
	s_and_saveexec_b64 s[30:31], vcc
	s_cbranch_execz .LBB100_66
.LBB100_88:                             ;   in Loop: Header=BB100_14 Depth=1
	s_waitcnt lgkmcnt(11)
	global_store_short v[18:19], v69, off offset:512
	s_or_b64 exec, exec, s[30:31]
	v_cmp_gt_u32_e32 vcc, s40, v27
	s_and_saveexec_b64 s[30:31], vcc
	s_cbranch_execz .LBB100_67
.LBB100_89:                             ;   in Loop: Header=BB100_14 Depth=1
	s_waitcnt lgkmcnt(10)
	global_store_short v[18:19], v68, off offset:640
	s_or_b64 exec, exec, s[30:31]
	v_cmp_gt_u32_e32 vcc, s40, v28
	s_and_saveexec_b64 s[30:31], vcc
	s_cbranch_execz .LBB100_68
.LBB100_90:                             ;   in Loop: Header=BB100_14 Depth=1
	s_waitcnt lgkmcnt(9)
	global_store_short v[18:19], v67, off offset:768
	s_or_b64 exec, exec, s[30:31]
	v_cmp_gt_u32_e32 vcc, s40, v29
	s_and_saveexec_b64 s[30:31], vcc
	s_cbranch_execz .LBB100_69
.LBB100_91:                             ;   in Loop: Header=BB100_14 Depth=1
	s_waitcnt lgkmcnt(8)
	global_store_short v[18:19], v66, off offset:896
	s_or_b64 exec, exec, s[30:31]
	v_cmp_gt_u32_e32 vcc, s40, v30
	s_and_saveexec_b64 s[30:31], vcc
	s_cbranch_execz .LBB100_70
.LBB100_92:                             ;   in Loop: Header=BB100_14 Depth=1
	s_waitcnt lgkmcnt(7)
	global_store_short v[18:19], v65, off offset:1024
	s_or_b64 exec, exec, s[30:31]
	v_cmp_gt_u32_e32 vcc, s40, v31
	s_and_saveexec_b64 s[30:31], vcc
	s_cbranch_execz .LBB100_71
.LBB100_93:                             ;   in Loop: Header=BB100_14 Depth=1
	s_waitcnt lgkmcnt(6)
	global_store_short v[18:19], v64, off offset:1152
	s_or_b64 exec, exec, s[30:31]
	v_cmp_gt_u32_e32 vcc, s40, v32
	s_and_saveexec_b64 s[30:31], vcc
	s_cbranch_execz .LBB100_72
.LBB100_94:                             ;   in Loop: Header=BB100_14 Depth=1
	s_waitcnt lgkmcnt(5)
	global_store_short v[18:19], v63, off offset:1280
	s_or_b64 exec, exec, s[30:31]
	v_cmp_gt_u32_e32 vcc, s40, v33
	s_and_saveexec_b64 s[30:31], vcc
	s_cbranch_execz .LBB100_73
.LBB100_95:                             ;   in Loop: Header=BB100_14 Depth=1
	s_waitcnt lgkmcnt(4)
	global_store_short v[18:19], v62, off offset:1408
	s_or_b64 exec, exec, s[30:31]
	v_cmp_gt_u32_e32 vcc, s40, v34
	s_and_saveexec_b64 s[30:31], vcc
	s_cbranch_execz .LBB100_74
.LBB100_96:                             ;   in Loop: Header=BB100_14 Depth=1
	s_waitcnt lgkmcnt(3)
	global_store_short v[18:19], v61, off offset:1536
	s_or_b64 exec, exec, s[30:31]
	v_cmp_gt_u32_e32 vcc, s40, v35
	s_and_saveexec_b64 s[30:31], vcc
	s_cbranch_execz .LBB100_75
.LBB100_97:                             ;   in Loop: Header=BB100_14 Depth=1
	s_waitcnt lgkmcnt(2)
	global_store_short v[18:19], v60, off offset:1664
	s_or_b64 exec, exec, s[30:31]
	v_cmp_gt_u32_e32 vcc, s40, v36
	s_and_saveexec_b64 s[30:31], vcc
	s_cbranch_execnz .LBB100_76
	s_branch .LBB100_77
.LBB100_98:
	s_endpgm
	.section	.rodata,"a",@progbits
	.p2align	6, 0x0
	.amdhsa_kernel _ZN2at4cuda3cub17final_scan_kernelILi512ELi16EN3c104HalfEEEvPKT1_PS5_S8_li
		.amdhsa_group_segment_fixed_size 16896
		.amdhsa_private_segment_fixed_size 0
		.amdhsa_kernarg_size 296
		.amdhsa_user_sgpr_count 2
		.amdhsa_user_sgpr_dispatch_ptr 0
		.amdhsa_user_sgpr_queue_ptr 0
		.amdhsa_user_sgpr_kernarg_segment_ptr 1
		.amdhsa_user_sgpr_dispatch_id 0
		.amdhsa_user_sgpr_kernarg_preload_length 0
		.amdhsa_user_sgpr_kernarg_preload_offset 0
		.amdhsa_user_sgpr_private_segment_size 0
		.amdhsa_uses_dynamic_stack 0
		.amdhsa_enable_private_segment 0
		.amdhsa_system_sgpr_workgroup_id_x 1
		.amdhsa_system_sgpr_workgroup_id_y 0
		.amdhsa_system_sgpr_workgroup_id_z 0
		.amdhsa_system_sgpr_workgroup_info 0
		.amdhsa_system_vgpr_workitem_id 0
		.amdhsa_next_free_vgpr 74
		.amdhsa_next_free_sgpr 46
		.amdhsa_accum_offset 76
		.amdhsa_reserve_vcc 1
		.amdhsa_float_round_mode_32 0
		.amdhsa_float_round_mode_16_64 0
		.amdhsa_float_denorm_mode_32 3
		.amdhsa_float_denorm_mode_16_64 3
		.amdhsa_dx10_clamp 1
		.amdhsa_ieee_mode 1
		.amdhsa_fp16_overflow 0
		.amdhsa_tg_split 0
		.amdhsa_exception_fp_ieee_invalid_op 0
		.amdhsa_exception_fp_denorm_src 0
		.amdhsa_exception_fp_ieee_div_zero 0
		.amdhsa_exception_fp_ieee_overflow 0
		.amdhsa_exception_fp_ieee_underflow 0
		.amdhsa_exception_fp_ieee_inexact 0
		.amdhsa_exception_int_div_zero 0
	.end_amdhsa_kernel
	.section	.text._ZN2at4cuda3cub17final_scan_kernelILi512ELi16EN3c104HalfEEEvPKT1_PS5_S8_li,"axG",@progbits,_ZN2at4cuda3cub17final_scan_kernelILi512ELi16EN3c104HalfEEEvPKT1_PS5_S8_li,comdat
.Lfunc_end100:
	.size	_ZN2at4cuda3cub17final_scan_kernelILi512ELi16EN3c104HalfEEEvPKT1_PS5_S8_li, .Lfunc_end100-_ZN2at4cuda3cub17final_scan_kernelILi512ELi16EN3c104HalfEEEvPKT1_PS5_S8_li
                                        ; -- End function
	.section	.AMDGPU.csdata,"",@progbits
; Kernel info:
; codeLenInByte = 4284
; NumSgprs: 52
; NumVgprs: 74
; NumAgprs: 0
; TotalNumVgprs: 74
; ScratchSize: 0
; MemoryBound: 0
; FloatMode: 240
; IeeeMode: 1
; LDSByteSize: 16896 bytes/workgroup (compile time only)
; SGPRBlocks: 6
; VGPRBlocks: 9
; NumSGPRsForWavesPerEU: 52
; NumVGPRsForWavesPerEU: 74
; AccumOffset: 76
; Occupancy: 6
; WaveLimiterHint : 1
; COMPUTE_PGM_RSRC2:SCRATCH_EN: 0
; COMPUTE_PGM_RSRC2:USER_SGPR: 2
; COMPUTE_PGM_RSRC2:TRAP_HANDLER: 0
; COMPUTE_PGM_RSRC2:TGID_X_EN: 1
; COMPUTE_PGM_RSRC2:TGID_Y_EN: 0
; COMPUTE_PGM_RSRC2:TGID_Z_EN: 0
; COMPUTE_PGM_RSRC2:TIDIG_COMP_CNT: 0
; COMPUTE_PGM_RSRC3_GFX90A:ACCUM_OFFSET: 18
; COMPUTE_PGM_RSRC3_GFX90A:TG_SPLIT: 0
	.section	.text._ZN7rocprim17ROCPRIM_304000_NS6detail31init_lookback_scan_state_kernelINS1_19lookback_scan_stateIN3c104HalfELb1ELb1EEEEEvT_jjPNS7_10value_typeE,"axG",@progbits,_ZN7rocprim17ROCPRIM_304000_NS6detail31init_lookback_scan_state_kernelINS1_19lookback_scan_stateIN3c104HalfELb1ELb1EEEEEvT_jjPNS7_10value_typeE,comdat
	.protected	_ZN7rocprim17ROCPRIM_304000_NS6detail31init_lookback_scan_state_kernelINS1_19lookback_scan_stateIN3c104HalfELb1ELb1EEEEEvT_jjPNS7_10value_typeE ; -- Begin function _ZN7rocprim17ROCPRIM_304000_NS6detail31init_lookback_scan_state_kernelINS1_19lookback_scan_stateIN3c104HalfELb1ELb1EEEEEvT_jjPNS7_10value_typeE
	.globl	_ZN7rocprim17ROCPRIM_304000_NS6detail31init_lookback_scan_state_kernelINS1_19lookback_scan_stateIN3c104HalfELb1ELb1EEEEEvT_jjPNS7_10value_typeE
	.p2align	8
	.type	_ZN7rocprim17ROCPRIM_304000_NS6detail31init_lookback_scan_state_kernelINS1_19lookback_scan_stateIN3c104HalfELb1ELb1EEEEEvT_jjPNS7_10value_typeE,@function
_ZN7rocprim17ROCPRIM_304000_NS6detail31init_lookback_scan_state_kernelINS1_19lookback_scan_stateIN3c104HalfELb1ELb1EEEEEvT_jjPNS7_10value_typeE: ; @_ZN7rocprim17ROCPRIM_304000_NS6detail31init_lookback_scan_state_kernelINS1_19lookback_scan_stateIN3c104HalfELb1ELb1EEEEEvT_jjPNS7_10value_typeE
; %bb.0:
	s_load_dword s3, s[0:1], 0x24
	s_load_dwordx2 s[8:9], s[0:1], 0x10
	s_load_dwordx4 s[4:7], s[0:1], 0x0
	s_waitcnt lgkmcnt(0)
	s_and_b32 s0, s3, 0xffff
	s_mul_i32 s2, s2, s0
	s_cmp_eq_u64 s[8:9], 0
	v_add_u32_e32 v0, s2, v0
	s_cbranch_scc1 .LBB101_9
; %bb.1:
	s_cmp_lt_u32 s7, s6
	s_cselect_b32 s0, s7, 0
	s_mov_b32 s3, 0
	v_cmp_eq_u32_e32 vcc, s0, v0
	s_and_saveexec_b64 s[0:1], vcc
	s_cbranch_execz .LBB101_8
; %bb.2:
	s_add_i32 s2, s7, 64
	s_lshl_b64 s[2:3], s[2:3], 2
	s_add_u32 s2, s4, s2
	s_addc_u32 s3, s5, s3
	v_mov_b32_e32 v1, 0
	global_load_dword v2, v1, s[2:3] sc1
	s_waitcnt vmcnt(0)
	v_and_b32_e32 v3, 0xff0000, v2
	v_cmp_ne_u32_e32 vcc, 0, v3
	s_cbranch_vccnz .LBB101_7
; %bb.3:
	s_mov_b32 s7, 1
.LBB101_4:                              ; =>This Loop Header: Depth=1
                                        ;     Child Loop BB101_5 Depth 2
	s_max_u32 s10, s7, 1
.LBB101_5:                              ;   Parent Loop BB101_4 Depth=1
                                        ; =>  This Inner Loop Header: Depth=2
	s_add_i32 s10, s10, -1
	s_cmp_eq_u32 s10, 0
	s_sleep 1
	s_cbranch_scc0 .LBB101_5
; %bb.6:                                ;   in Loop: Header=BB101_4 Depth=1
	global_load_dword v2, v1, s[2:3] sc1
	s_cmp_lt_u32 s7, 32
	s_cselect_b64 s[10:11], -1, 0
	s_cmp_lg_u64 s[10:11], 0
	s_addc_u32 s7, s7, 0
	s_waitcnt vmcnt(0)
	v_and_b32_e32 v3, 0xff0000, v2
	v_cmp_ne_u32_e32 vcc, 0, v3
	s_cbranch_vccz .LBB101_4
.LBB101_7:
	v_mov_b32_e32 v1, 0
	global_store_short v1, v2, s[8:9]
.LBB101_8:
	s_or_b64 exec, exec, s[0:1]
.LBB101_9:
	v_cmp_gt_u32_e32 vcc, s6, v0
	s_and_saveexec_b64 s[0:1], vcc
	s_cbranch_execnz .LBB101_12
; %bb.10:
	s_or_b64 exec, exec, s[0:1]
	v_cmp_gt_u32_e32 vcc, 64, v0
	s_and_saveexec_b64 s[0:1], vcc
	s_cbranch_execnz .LBB101_13
.LBB101_11:
	s_endpgm
.LBB101_12:
	v_add_u32_e32 v2, 64, v0
	v_mov_b32_e32 v3, 0
	v_lshl_add_u64 v[4:5], v[2:3], 2, s[4:5]
	global_store_dword v[4:5], v3, off
	s_or_b64 exec, exec, s[0:1]
	v_cmp_gt_u32_e32 vcc, 64, v0
	s_and_saveexec_b64 s[0:1], vcc
	s_cbranch_execz .LBB101_11
.LBB101_13:
	v_mov_b32_e32 v1, 0
	v_lshl_add_u64 v[0:1], v[0:1], 2, s[4:5]
	v_mov_b32_e32 v2, 0xff0000
	global_store_dword v[0:1], v2, off
	s_endpgm
	.section	.rodata,"a",@progbits
	.p2align	6, 0x0
	.amdhsa_kernel _ZN7rocprim17ROCPRIM_304000_NS6detail31init_lookback_scan_state_kernelINS1_19lookback_scan_stateIN3c104HalfELb1ELb1EEEEEvT_jjPNS7_10value_typeE
		.amdhsa_group_segment_fixed_size 0
		.amdhsa_private_segment_fixed_size 0
		.amdhsa_kernarg_size 280
		.amdhsa_user_sgpr_count 2
		.amdhsa_user_sgpr_dispatch_ptr 0
		.amdhsa_user_sgpr_queue_ptr 0
		.amdhsa_user_sgpr_kernarg_segment_ptr 1
		.amdhsa_user_sgpr_dispatch_id 0
		.amdhsa_user_sgpr_kernarg_preload_length 0
		.amdhsa_user_sgpr_kernarg_preload_offset 0
		.amdhsa_user_sgpr_private_segment_size 0
		.amdhsa_uses_dynamic_stack 0
		.amdhsa_enable_private_segment 0
		.amdhsa_system_sgpr_workgroup_id_x 1
		.amdhsa_system_sgpr_workgroup_id_y 0
		.amdhsa_system_sgpr_workgroup_id_z 0
		.amdhsa_system_sgpr_workgroup_info 0
		.amdhsa_system_vgpr_workitem_id 0
		.amdhsa_next_free_vgpr 6
		.amdhsa_next_free_sgpr 12
		.amdhsa_accum_offset 8
		.amdhsa_reserve_vcc 1
		.amdhsa_float_round_mode_32 0
		.amdhsa_float_round_mode_16_64 0
		.amdhsa_float_denorm_mode_32 3
		.amdhsa_float_denorm_mode_16_64 3
		.amdhsa_dx10_clamp 1
		.amdhsa_ieee_mode 1
		.amdhsa_fp16_overflow 0
		.amdhsa_tg_split 0
		.amdhsa_exception_fp_ieee_invalid_op 0
		.amdhsa_exception_fp_denorm_src 0
		.amdhsa_exception_fp_ieee_div_zero 0
		.amdhsa_exception_fp_ieee_overflow 0
		.amdhsa_exception_fp_ieee_underflow 0
		.amdhsa_exception_fp_ieee_inexact 0
		.amdhsa_exception_int_div_zero 0
	.end_amdhsa_kernel
	.section	.text._ZN7rocprim17ROCPRIM_304000_NS6detail31init_lookback_scan_state_kernelINS1_19lookback_scan_stateIN3c104HalfELb1ELb1EEEEEvT_jjPNS7_10value_typeE,"axG",@progbits,_ZN7rocprim17ROCPRIM_304000_NS6detail31init_lookback_scan_state_kernelINS1_19lookback_scan_stateIN3c104HalfELb1ELb1EEEEEvT_jjPNS7_10value_typeE,comdat
.Lfunc_end101:
	.size	_ZN7rocprim17ROCPRIM_304000_NS6detail31init_lookback_scan_state_kernelINS1_19lookback_scan_stateIN3c104HalfELb1ELb1EEEEEvT_jjPNS7_10value_typeE, .Lfunc_end101-_ZN7rocprim17ROCPRIM_304000_NS6detail31init_lookback_scan_state_kernelINS1_19lookback_scan_stateIN3c104HalfELb1ELb1EEEEEvT_jjPNS7_10value_typeE
                                        ; -- End function
	.section	.AMDGPU.csdata,"",@progbits
; Kernel info:
; codeLenInByte = 312
; NumSgprs: 18
; NumVgprs: 6
; NumAgprs: 0
; TotalNumVgprs: 6
; ScratchSize: 0
; MemoryBound: 0
; FloatMode: 240
; IeeeMode: 1
; LDSByteSize: 0 bytes/workgroup (compile time only)
; SGPRBlocks: 2
; VGPRBlocks: 0
; NumSGPRsForWavesPerEU: 18
; NumVGPRsForWavesPerEU: 6
; AccumOffset: 8
; Occupancy: 8
; WaveLimiterHint : 0
; COMPUTE_PGM_RSRC2:SCRATCH_EN: 0
; COMPUTE_PGM_RSRC2:USER_SGPR: 2
; COMPUTE_PGM_RSRC2:TRAP_HANDLER: 0
; COMPUTE_PGM_RSRC2:TGID_X_EN: 1
; COMPUTE_PGM_RSRC2:TGID_Y_EN: 0
; COMPUTE_PGM_RSRC2:TGID_Z_EN: 0
; COMPUTE_PGM_RSRC2:TIDIG_COMP_CNT: 0
; COMPUTE_PGM_RSRC3_GFX90A:ACCUM_OFFSET: 1
; COMPUTE_PGM_RSRC3_GFX90A:TG_SPLIT: 0
	.section	.text._ZN7rocprim17ROCPRIM_304000_NS6detail31init_lookback_scan_state_kernelINS1_19lookback_scan_stateIN3c104HalfELb0ELb1EEEEEvT_jjPNS7_10value_typeE,"axG",@progbits,_ZN7rocprim17ROCPRIM_304000_NS6detail31init_lookback_scan_state_kernelINS1_19lookback_scan_stateIN3c104HalfELb0ELb1EEEEEvT_jjPNS7_10value_typeE,comdat
	.protected	_ZN7rocprim17ROCPRIM_304000_NS6detail31init_lookback_scan_state_kernelINS1_19lookback_scan_stateIN3c104HalfELb0ELb1EEEEEvT_jjPNS7_10value_typeE ; -- Begin function _ZN7rocprim17ROCPRIM_304000_NS6detail31init_lookback_scan_state_kernelINS1_19lookback_scan_stateIN3c104HalfELb0ELb1EEEEEvT_jjPNS7_10value_typeE
	.globl	_ZN7rocprim17ROCPRIM_304000_NS6detail31init_lookback_scan_state_kernelINS1_19lookback_scan_stateIN3c104HalfELb0ELb1EEEEEvT_jjPNS7_10value_typeE
	.p2align	8
	.type	_ZN7rocprim17ROCPRIM_304000_NS6detail31init_lookback_scan_state_kernelINS1_19lookback_scan_stateIN3c104HalfELb0ELb1EEEEEvT_jjPNS7_10value_typeE,@function
_ZN7rocprim17ROCPRIM_304000_NS6detail31init_lookback_scan_state_kernelINS1_19lookback_scan_stateIN3c104HalfELb0ELb1EEEEEvT_jjPNS7_10value_typeE: ; @_ZN7rocprim17ROCPRIM_304000_NS6detail31init_lookback_scan_state_kernelINS1_19lookback_scan_stateIN3c104HalfELb0ELb1EEEEEvT_jjPNS7_10value_typeE
; %bb.0:
	s_load_dword s3, s[0:1], 0x24
	s_load_dwordx2 s[8:9], s[0:1], 0x10
	s_load_dwordx4 s[4:7], s[0:1], 0x0
	s_waitcnt lgkmcnt(0)
	s_and_b32 s0, s3, 0xffff
	s_mul_i32 s2, s2, s0
	s_cmp_eq_u64 s[8:9], 0
	v_add_u32_e32 v0, s2, v0
	s_cbranch_scc1 .LBB102_6
; %bb.1:
	s_cmp_lt_u32 s7, s6
	s_cselect_b32 s0, s7, 0
	s_mov_b32 s3, 0
	v_cmp_eq_u32_e32 vcc, s0, v0
	s_and_saveexec_b64 s[0:1], vcc
	s_cbranch_execz .LBB102_5
; %bb.2:
	s_add_i32 s2, s7, 64
	s_lshl_b64 s[2:3], s[2:3], 2
	s_add_u32 s2, s4, s2
	s_addc_u32 s3, s5, s3
	v_mov_b32_e32 v2, 0
	global_load_dword v1, v2, s[2:3] sc1
	s_waitcnt vmcnt(0)
	v_and_b32_e32 v3, 0xff0000, v1
	v_cmp_ne_u32_e32 vcc, 0, v3
	s_cbranch_vccnz .LBB102_4
.LBB102_3:                              ; =>This Inner Loop Header: Depth=1
	global_load_dword v1, v2, s[2:3] sc1
	s_waitcnt vmcnt(0)
	v_and_b32_e32 v3, 0xff0000, v1
	v_cmp_eq_u32_e32 vcc, 0, v3
	s_cbranch_vccnz .LBB102_3
.LBB102_4:
	v_mov_b32_e32 v2, 0
	global_store_short v2, v1, s[8:9]
.LBB102_5:
	s_or_b64 exec, exec, s[0:1]
.LBB102_6:
	v_cmp_gt_u32_e32 vcc, s6, v0
	s_and_saveexec_b64 s[0:1], vcc
	s_cbranch_execnz .LBB102_9
; %bb.7:
	s_or_b64 exec, exec, s[0:1]
	v_cmp_gt_u32_e32 vcc, 64, v0
	s_and_saveexec_b64 s[0:1], vcc
	s_cbranch_execnz .LBB102_10
.LBB102_8:
	s_endpgm
.LBB102_9:
	v_add_u32_e32 v2, 64, v0
	v_mov_b32_e32 v3, 0
	v_lshl_add_u64 v[4:5], v[2:3], 2, s[4:5]
	global_store_dword v[4:5], v3, off
	s_or_b64 exec, exec, s[0:1]
	v_cmp_gt_u32_e32 vcc, 64, v0
	s_and_saveexec_b64 s[0:1], vcc
	s_cbranch_execz .LBB102_8
.LBB102_10:
	v_mov_b32_e32 v1, 0
	v_lshl_add_u64 v[0:1], v[0:1], 2, s[4:5]
	v_mov_b32_e32 v2, 0xff0000
	global_store_dword v[0:1], v2, off
	s_endpgm
	.section	.rodata,"a",@progbits
	.p2align	6, 0x0
	.amdhsa_kernel _ZN7rocprim17ROCPRIM_304000_NS6detail31init_lookback_scan_state_kernelINS1_19lookback_scan_stateIN3c104HalfELb0ELb1EEEEEvT_jjPNS7_10value_typeE
		.amdhsa_group_segment_fixed_size 0
		.amdhsa_private_segment_fixed_size 0
		.amdhsa_kernarg_size 280
		.amdhsa_user_sgpr_count 2
		.amdhsa_user_sgpr_dispatch_ptr 0
		.amdhsa_user_sgpr_queue_ptr 0
		.amdhsa_user_sgpr_kernarg_segment_ptr 1
		.amdhsa_user_sgpr_dispatch_id 0
		.amdhsa_user_sgpr_kernarg_preload_length 0
		.amdhsa_user_sgpr_kernarg_preload_offset 0
		.amdhsa_user_sgpr_private_segment_size 0
		.amdhsa_uses_dynamic_stack 0
		.amdhsa_enable_private_segment 0
		.amdhsa_system_sgpr_workgroup_id_x 1
		.amdhsa_system_sgpr_workgroup_id_y 0
		.amdhsa_system_sgpr_workgroup_id_z 0
		.amdhsa_system_sgpr_workgroup_info 0
		.amdhsa_system_vgpr_workitem_id 0
		.amdhsa_next_free_vgpr 6
		.amdhsa_next_free_sgpr 10
		.amdhsa_accum_offset 8
		.amdhsa_reserve_vcc 1
		.amdhsa_float_round_mode_32 0
		.amdhsa_float_round_mode_16_64 0
		.amdhsa_float_denorm_mode_32 3
		.amdhsa_float_denorm_mode_16_64 3
		.amdhsa_dx10_clamp 1
		.amdhsa_ieee_mode 1
		.amdhsa_fp16_overflow 0
		.amdhsa_tg_split 0
		.amdhsa_exception_fp_ieee_invalid_op 0
		.amdhsa_exception_fp_denorm_src 0
		.amdhsa_exception_fp_ieee_div_zero 0
		.amdhsa_exception_fp_ieee_overflow 0
		.amdhsa_exception_fp_ieee_underflow 0
		.amdhsa_exception_fp_ieee_inexact 0
		.amdhsa_exception_int_div_zero 0
	.end_amdhsa_kernel
	.section	.text._ZN7rocprim17ROCPRIM_304000_NS6detail31init_lookback_scan_state_kernelINS1_19lookback_scan_stateIN3c104HalfELb0ELb1EEEEEvT_jjPNS7_10value_typeE,"axG",@progbits,_ZN7rocprim17ROCPRIM_304000_NS6detail31init_lookback_scan_state_kernelINS1_19lookback_scan_stateIN3c104HalfELb0ELb1EEEEEvT_jjPNS7_10value_typeE,comdat
.Lfunc_end102:
	.size	_ZN7rocprim17ROCPRIM_304000_NS6detail31init_lookback_scan_state_kernelINS1_19lookback_scan_stateIN3c104HalfELb0ELb1EEEEEvT_jjPNS7_10value_typeE, .Lfunc_end102-_ZN7rocprim17ROCPRIM_304000_NS6detail31init_lookback_scan_state_kernelINS1_19lookback_scan_stateIN3c104HalfELb0ELb1EEEEEvT_jjPNS7_10value_typeE
                                        ; -- End function
	.section	.AMDGPU.csdata,"",@progbits
; Kernel info:
; codeLenInByte = 272
; NumSgprs: 16
; NumVgprs: 6
; NumAgprs: 0
; TotalNumVgprs: 6
; ScratchSize: 0
; MemoryBound: 0
; FloatMode: 240
; IeeeMode: 1
; LDSByteSize: 0 bytes/workgroup (compile time only)
; SGPRBlocks: 1
; VGPRBlocks: 0
; NumSGPRsForWavesPerEU: 16
; NumVGPRsForWavesPerEU: 6
; AccumOffset: 8
; Occupancy: 8
; WaveLimiterHint : 0
; COMPUTE_PGM_RSRC2:SCRATCH_EN: 0
; COMPUTE_PGM_RSRC2:USER_SGPR: 2
; COMPUTE_PGM_RSRC2:TRAP_HANDLER: 0
; COMPUTE_PGM_RSRC2:TGID_X_EN: 1
; COMPUTE_PGM_RSRC2:TGID_Y_EN: 0
; COMPUTE_PGM_RSRC2:TGID_Z_EN: 0
; COMPUTE_PGM_RSRC2:TIDIG_COMP_CNT: 0
; COMPUTE_PGM_RSRC3_GFX90A:ACCUM_OFFSET: 1
; COMPUTE_PGM_RSRC3_GFX90A:TG_SPLIT: 0
	.section	.text._ZN7rocprim17ROCPRIM_304000_NS6detail20lookback_scan_kernelILNS1_25lookback_scan_determinismE0ELb0ENS1_19wrapped_scan_configINS0_14default_configEN3c104HalfEEEPKS7_PS7_St4plusIS7_ES7_S7_NS1_19lookback_scan_stateIS7_Lb1ELb1EEEEEvT2_T3_mT5_T4_T7_jPT6_SM_bb,"axG",@progbits,_ZN7rocprim17ROCPRIM_304000_NS6detail20lookback_scan_kernelILNS1_25lookback_scan_determinismE0ELb0ENS1_19wrapped_scan_configINS0_14default_configEN3c104HalfEEEPKS7_PS7_St4plusIS7_ES7_S7_NS1_19lookback_scan_stateIS7_Lb1ELb1EEEEEvT2_T3_mT5_T4_T7_jPT6_SM_bb,comdat
	.protected	_ZN7rocprim17ROCPRIM_304000_NS6detail20lookback_scan_kernelILNS1_25lookback_scan_determinismE0ELb0ENS1_19wrapped_scan_configINS0_14default_configEN3c104HalfEEEPKS7_PS7_St4plusIS7_ES7_S7_NS1_19lookback_scan_stateIS7_Lb1ELb1EEEEEvT2_T3_mT5_T4_T7_jPT6_SM_bb ; -- Begin function _ZN7rocprim17ROCPRIM_304000_NS6detail20lookback_scan_kernelILNS1_25lookback_scan_determinismE0ELb0ENS1_19wrapped_scan_configINS0_14default_configEN3c104HalfEEEPKS7_PS7_St4plusIS7_ES7_S7_NS1_19lookback_scan_stateIS7_Lb1ELb1EEEEEvT2_T3_mT5_T4_T7_jPT6_SM_bb
	.globl	_ZN7rocprim17ROCPRIM_304000_NS6detail20lookback_scan_kernelILNS1_25lookback_scan_determinismE0ELb0ENS1_19wrapped_scan_configINS0_14default_configEN3c104HalfEEEPKS7_PS7_St4plusIS7_ES7_S7_NS1_19lookback_scan_stateIS7_Lb1ELb1EEEEEvT2_T3_mT5_T4_T7_jPT6_SM_bb
	.p2align	8
	.type	_ZN7rocprim17ROCPRIM_304000_NS6detail20lookback_scan_kernelILNS1_25lookback_scan_determinismE0ELb0ENS1_19wrapped_scan_configINS0_14default_configEN3c104HalfEEEPKS7_PS7_St4plusIS7_ES7_S7_NS1_19lookback_scan_stateIS7_Lb1ELb1EEEEEvT2_T3_mT5_T4_T7_jPT6_SM_bb,@function
_ZN7rocprim17ROCPRIM_304000_NS6detail20lookback_scan_kernelILNS1_25lookback_scan_determinismE0ELb0ENS1_19wrapped_scan_configINS0_14default_configEN3c104HalfEEEPKS7_PS7_St4plusIS7_ES7_S7_NS1_19lookback_scan_stateIS7_Lb1ELb1EEEEEvT2_T3_mT5_T4_T7_jPT6_SM_bb: ; @_ZN7rocprim17ROCPRIM_304000_NS6detail20lookback_scan_kernelILNS1_25lookback_scan_determinismE0ELb0ENS1_19wrapped_scan_configINS0_14default_configEN3c104HalfEEEPKS7_PS7_St4plusIS7_ES7_S7_NS1_19lookback_scan_stateIS7_Lb1ELb1EEEEEvT2_T3_mT5_T4_T7_jPT6_SM_bb
; %bb.0:
	s_endpgm
	.section	.rodata,"a",@progbits
	.p2align	6, 0x0
	.amdhsa_kernel _ZN7rocprim17ROCPRIM_304000_NS6detail20lookback_scan_kernelILNS1_25lookback_scan_determinismE0ELb0ENS1_19wrapped_scan_configINS0_14default_configEN3c104HalfEEEPKS7_PS7_St4plusIS7_ES7_S7_NS1_19lookback_scan_stateIS7_Lb1ELb1EEEEEvT2_T3_mT5_T4_T7_jPT6_SM_bb
		.amdhsa_group_segment_fixed_size 0
		.amdhsa_private_segment_fixed_size 0
		.amdhsa_kernarg_size 68
		.amdhsa_user_sgpr_count 2
		.amdhsa_user_sgpr_dispatch_ptr 0
		.amdhsa_user_sgpr_queue_ptr 0
		.amdhsa_user_sgpr_kernarg_segment_ptr 1
		.amdhsa_user_sgpr_dispatch_id 0
		.amdhsa_user_sgpr_kernarg_preload_length 0
		.amdhsa_user_sgpr_kernarg_preload_offset 0
		.amdhsa_user_sgpr_private_segment_size 0
		.amdhsa_uses_dynamic_stack 0
		.amdhsa_enable_private_segment 0
		.amdhsa_system_sgpr_workgroup_id_x 1
		.amdhsa_system_sgpr_workgroup_id_y 0
		.amdhsa_system_sgpr_workgroup_id_z 0
		.amdhsa_system_sgpr_workgroup_info 0
		.amdhsa_system_vgpr_workitem_id 0
		.amdhsa_next_free_vgpr 1
		.amdhsa_next_free_sgpr 0
		.amdhsa_accum_offset 4
		.amdhsa_reserve_vcc 0
		.amdhsa_float_round_mode_32 0
		.amdhsa_float_round_mode_16_64 0
		.amdhsa_float_denorm_mode_32 3
		.amdhsa_float_denorm_mode_16_64 3
		.amdhsa_dx10_clamp 1
		.amdhsa_ieee_mode 1
		.amdhsa_fp16_overflow 0
		.amdhsa_tg_split 0
		.amdhsa_exception_fp_ieee_invalid_op 0
		.amdhsa_exception_fp_denorm_src 0
		.amdhsa_exception_fp_ieee_div_zero 0
		.amdhsa_exception_fp_ieee_overflow 0
		.amdhsa_exception_fp_ieee_underflow 0
		.amdhsa_exception_fp_ieee_inexact 0
		.amdhsa_exception_int_div_zero 0
	.end_amdhsa_kernel
	.section	.text._ZN7rocprim17ROCPRIM_304000_NS6detail20lookback_scan_kernelILNS1_25lookback_scan_determinismE0ELb0ENS1_19wrapped_scan_configINS0_14default_configEN3c104HalfEEEPKS7_PS7_St4plusIS7_ES7_S7_NS1_19lookback_scan_stateIS7_Lb1ELb1EEEEEvT2_T3_mT5_T4_T7_jPT6_SM_bb,"axG",@progbits,_ZN7rocprim17ROCPRIM_304000_NS6detail20lookback_scan_kernelILNS1_25lookback_scan_determinismE0ELb0ENS1_19wrapped_scan_configINS0_14default_configEN3c104HalfEEEPKS7_PS7_St4plusIS7_ES7_S7_NS1_19lookback_scan_stateIS7_Lb1ELb1EEEEEvT2_T3_mT5_T4_T7_jPT6_SM_bb,comdat
.Lfunc_end103:
	.size	_ZN7rocprim17ROCPRIM_304000_NS6detail20lookback_scan_kernelILNS1_25lookback_scan_determinismE0ELb0ENS1_19wrapped_scan_configINS0_14default_configEN3c104HalfEEEPKS7_PS7_St4plusIS7_ES7_S7_NS1_19lookback_scan_stateIS7_Lb1ELb1EEEEEvT2_T3_mT5_T4_T7_jPT6_SM_bb, .Lfunc_end103-_ZN7rocprim17ROCPRIM_304000_NS6detail20lookback_scan_kernelILNS1_25lookback_scan_determinismE0ELb0ENS1_19wrapped_scan_configINS0_14default_configEN3c104HalfEEEPKS7_PS7_St4plusIS7_ES7_S7_NS1_19lookback_scan_stateIS7_Lb1ELb1EEEEEvT2_T3_mT5_T4_T7_jPT6_SM_bb
                                        ; -- End function
	.section	.AMDGPU.csdata,"",@progbits
; Kernel info:
; codeLenInByte = 4
; NumSgprs: 6
; NumVgprs: 0
; NumAgprs: 0
; TotalNumVgprs: 0
; ScratchSize: 0
; MemoryBound: 0
; FloatMode: 240
; IeeeMode: 1
; LDSByteSize: 0 bytes/workgroup (compile time only)
; SGPRBlocks: 0
; VGPRBlocks: 0
; NumSGPRsForWavesPerEU: 6
; NumVGPRsForWavesPerEU: 1
; AccumOffset: 4
; Occupancy: 8
; WaveLimiterHint : 0
; COMPUTE_PGM_RSRC2:SCRATCH_EN: 0
; COMPUTE_PGM_RSRC2:USER_SGPR: 2
; COMPUTE_PGM_RSRC2:TRAP_HANDLER: 0
; COMPUTE_PGM_RSRC2:TGID_X_EN: 1
; COMPUTE_PGM_RSRC2:TGID_Y_EN: 0
; COMPUTE_PGM_RSRC2:TGID_Z_EN: 0
; COMPUTE_PGM_RSRC2:TIDIG_COMP_CNT: 0
; COMPUTE_PGM_RSRC3_GFX90A:ACCUM_OFFSET: 0
; COMPUTE_PGM_RSRC3_GFX90A:TG_SPLIT: 0
	.section	.text._ZN7rocprim17ROCPRIM_304000_NS6detail20lookback_scan_kernelILNS1_25lookback_scan_determinismE0ELb0ENS1_19wrapped_scan_configINS0_14default_configEN3c104HalfEEEPKS7_PS7_St4plusIS7_ES7_S7_NS1_19lookback_scan_stateIS7_Lb0ELb1EEEEEvT2_T3_mT5_T4_T7_jPT6_SM_bb,"axG",@progbits,_ZN7rocprim17ROCPRIM_304000_NS6detail20lookback_scan_kernelILNS1_25lookback_scan_determinismE0ELb0ENS1_19wrapped_scan_configINS0_14default_configEN3c104HalfEEEPKS7_PS7_St4plusIS7_ES7_S7_NS1_19lookback_scan_stateIS7_Lb0ELb1EEEEEvT2_T3_mT5_T4_T7_jPT6_SM_bb,comdat
	.protected	_ZN7rocprim17ROCPRIM_304000_NS6detail20lookback_scan_kernelILNS1_25lookback_scan_determinismE0ELb0ENS1_19wrapped_scan_configINS0_14default_configEN3c104HalfEEEPKS7_PS7_St4plusIS7_ES7_S7_NS1_19lookback_scan_stateIS7_Lb0ELb1EEEEEvT2_T3_mT5_T4_T7_jPT6_SM_bb ; -- Begin function _ZN7rocprim17ROCPRIM_304000_NS6detail20lookback_scan_kernelILNS1_25lookback_scan_determinismE0ELb0ENS1_19wrapped_scan_configINS0_14default_configEN3c104HalfEEEPKS7_PS7_St4plusIS7_ES7_S7_NS1_19lookback_scan_stateIS7_Lb0ELb1EEEEEvT2_T3_mT5_T4_T7_jPT6_SM_bb
	.globl	_ZN7rocprim17ROCPRIM_304000_NS6detail20lookback_scan_kernelILNS1_25lookback_scan_determinismE0ELb0ENS1_19wrapped_scan_configINS0_14default_configEN3c104HalfEEEPKS7_PS7_St4plusIS7_ES7_S7_NS1_19lookback_scan_stateIS7_Lb0ELb1EEEEEvT2_T3_mT5_T4_T7_jPT6_SM_bb
	.p2align	8
	.type	_ZN7rocprim17ROCPRIM_304000_NS6detail20lookback_scan_kernelILNS1_25lookback_scan_determinismE0ELb0ENS1_19wrapped_scan_configINS0_14default_configEN3c104HalfEEEPKS7_PS7_St4plusIS7_ES7_S7_NS1_19lookback_scan_stateIS7_Lb0ELb1EEEEEvT2_T3_mT5_T4_T7_jPT6_SM_bb,@function
_ZN7rocprim17ROCPRIM_304000_NS6detail20lookback_scan_kernelILNS1_25lookback_scan_determinismE0ELb0ENS1_19wrapped_scan_configINS0_14default_configEN3c104HalfEEEPKS7_PS7_St4plusIS7_ES7_S7_NS1_19lookback_scan_stateIS7_Lb0ELb1EEEEEvT2_T3_mT5_T4_T7_jPT6_SM_bb: ; @_ZN7rocprim17ROCPRIM_304000_NS6detail20lookback_scan_kernelILNS1_25lookback_scan_determinismE0ELb0ENS1_19wrapped_scan_configINS0_14default_configEN3c104HalfEEEPKS7_PS7_St4plusIS7_ES7_S7_NS1_19lookback_scan_stateIS7_Lb0ELb1EEEEEvT2_T3_mT5_T4_T7_jPT6_SM_bb
; %bb.0:
	s_load_dword s3, s[0:1], 0x28
	s_load_dwordx4 s[12:15], s[0:1], 0x0
	s_load_dwordx2 s[4:5], s[0:1], 0x10
	s_mul_i32 s6, s2, 0x1800
	s_mov_b32 s7, 0
	s_waitcnt lgkmcnt(0)
	s_add_i32 s3, s3, -1
	s_mul_i32 s8, s3, 0x1800
	s_sub_u32 s26, s4, s8
	s_subb_u32 s27, s5, 0
	s_cmp_lg_u32 s2, s3
	s_cselect_b64 s[16:17], -1, 0
	s_lshl_b64 s[18:19], s[6:7], 1
	s_add_u32 s6, s12, s18
	s_addc_u32 s7, s13, s19
	s_mov_b64 s[4:5], -1
	s_and_b64 vcc, exec, s[16:17]
	v_lshlrev_b32_e32 v14, 1, v0
	s_cbranch_vccz .LBB104_2
; %bb.1:
	v_mov_b32_e32 v15, 0
	v_lshl_add_u64 v[2:3], s[6:7], 0, v[14:15]
	v_add_co_u32_e32 v4, vcc, 0x1000, v2
	global_load_ushort v1, v14, s[6:7]
	global_load_ushort v6, v14, s[6:7] offset:512
	global_load_ushort v7, v14, s[6:7] offset:1024
	global_load_ushort v8, v14, s[6:7] offset:1536
	global_load_ushort v9, v14, s[6:7] offset:2048
	global_load_ushort v10, v14, s[6:7] offset:2560
	global_load_ushort v11, v14, s[6:7] offset:3072
	global_load_ushort v12, v14, s[6:7] offset:3584
	v_addc_co_u32_e32 v5, vcc, 0, v3, vcc
	v_add_co_u32_e32 v2, vcc, 0x2000, v2
	global_load_ushort v13, v[4:5], off
	global_load_ushort v15, v[4:5], off offset:512
	global_load_ushort v16, v[4:5], off offset:1024
	;; [unrolled: 1-line block ×7, first 2 shown]
	v_addc_co_u32_e32 v3, vcc, 0, v3, vcc
	global_load_ushort v4, v[2:3], off
	global_load_ushort v5, v[2:3], off offset:512
	global_load_ushort v22, v[2:3], off offset:1024
	;; [unrolled: 1-line block ×7, first 2 shown]
	s_mov_b64 s[4:5], 0
	s_waitcnt vmcnt(23)
	ds_write_b16 v14, v1
	s_waitcnt vmcnt(22)
	ds_write_b16 v14, v6 offset:512
	s_waitcnt vmcnt(21)
	ds_write_b16 v14, v7 offset:1024
	;; [unrolled: 2-line block ×23, first 2 shown]
	s_waitcnt lgkmcnt(0)
	s_barrier
.LBB104_2:
	s_andn2_b64 vcc, exec, s[4:5]
	v_cmp_gt_u32_e64 s[4:5], s26, v0
	s_cbranch_vccnz .LBB104_52
; %bb.3:
	v_mov_b32_e32 v15, 0
	global_load_ushort v1, v15, s[6:7]
	v_lshl_add_u64 v[2:3], s[6:7], 0, v[14:15]
	s_waitcnt vmcnt(0)
	v_mov_b32_e32 v4, v1
	s_and_saveexec_b64 s[6:7], s[4:5]
	s_cbranch_execz .LBB104_5
; %bb.4:
	global_load_ushort v4, v[2:3], off
.LBB104_5:
	s_or_b64 exec, exec, s[6:7]
	v_or_b32_e32 v5, 0x100, v0
	v_cmp_gt_u32_e32 vcc, s26, v5
	v_mov_b32_e32 v5, v1
	s_and_saveexec_b64 s[4:5], vcc
	s_cbranch_execz .LBB104_7
; %bb.6:
	global_load_ushort v5, v[2:3], off offset:512
.LBB104_7:
	s_or_b64 exec, exec, s[4:5]
	v_or_b32_e32 v6, 0x200, v0
	v_cmp_gt_u32_e32 vcc, s26, v6
	v_mov_b32_e32 v6, v1
	s_and_saveexec_b64 s[4:5], vcc
	s_cbranch_execz .LBB104_9
; %bb.8:
	global_load_ushort v6, v[2:3], off offset:1024
.LBB104_9:
	;; [unrolled: 9-line block ×7, first 2 shown]
	s_or_b64 exec, exec, s[4:5]
	v_or_b32_e32 v12, 0x800, v0
	v_cmp_gt_u32_e32 vcc, s26, v12
	v_mov_b32_e32 v12, v1
	s_and_saveexec_b64 s[4:5], vcc
	s_cbranch_execz .LBB104_21
; %bb.20:
	v_add_co_u32_e32 v12, vcc, 0x1000, v2
	s_nop 1
	v_addc_co_u32_e32 v13, vcc, 0, v3, vcc
	global_load_ushort v12, v[12:13], off
.LBB104_21:
	s_or_b64 exec, exec, s[4:5]
	v_or_b32_e32 v13, 0x900, v0
	v_cmp_gt_u32_e32 vcc, s26, v13
	v_mov_b32_e32 v13, v1
	s_and_saveexec_b64 s[4:5], vcc
	s_cbranch_execz .LBB104_23
; %bb.22:
	v_add_co_u32_e32 v16, vcc, 0x1000, v2
	s_nop 1
	v_addc_co_u32_e32 v17, vcc, 0, v3, vcc
	global_load_ushort v13, v[16:17], off offset:512
.LBB104_23:
	s_or_b64 exec, exec, s[4:5]
	v_or_b32_e32 v15, 0xa00, v0
	v_cmp_gt_u32_e32 vcc, s26, v15
	v_mov_b32_e32 v15, v1
	s_and_saveexec_b64 s[4:5], vcc
	s_cbranch_execz .LBB104_25
; %bb.24:
	v_add_co_u32_e32 v16, vcc, 0x1000, v2
	s_nop 1
	v_addc_co_u32_e32 v17, vcc, 0, v3, vcc
	global_load_ushort v15, v[16:17], off offset:1024
.LBB104_25:
	;; [unrolled: 12-line block ×7, first 2 shown]
	s_or_b64 exec, exec, s[4:5]
	v_or_b32_e32 v21, 0x1000, v0
	v_cmp_gt_u32_e32 vcc, s26, v21
	v_mov_b32_e32 v21, v1
	s_and_saveexec_b64 s[4:5], vcc
	s_cbranch_execz .LBB104_37
; %bb.36:
	v_add_co_u32_e32 v22, vcc, 0x2000, v2
	s_nop 1
	v_addc_co_u32_e32 v23, vcc, 0, v3, vcc
	global_load_ushort v21, v[22:23], off
.LBB104_37:
	s_or_b64 exec, exec, s[4:5]
	v_or_b32_e32 v22, 0x1100, v0
	v_cmp_gt_u32_e32 vcc, s26, v22
	v_mov_b32_e32 v22, v1
	s_and_saveexec_b64 s[4:5], vcc
	s_cbranch_execz .LBB104_39
; %bb.38:
	v_add_co_u32_e32 v22, vcc, 0x2000, v2
	s_nop 1
	v_addc_co_u32_e32 v23, vcc, 0, v3, vcc
	global_load_ushort v22, v[22:23], off offset:512
.LBB104_39:
	s_or_b64 exec, exec, s[4:5]
	v_or_b32_e32 v23, 0x1200, v0
	v_cmp_gt_u32_e32 vcc, s26, v23
	v_mov_b32_e32 v23, v1
	s_and_saveexec_b64 s[4:5], vcc
	s_cbranch_execz .LBB104_41
; %bb.40:
	v_add_co_u32_e32 v24, vcc, 0x2000, v2
	s_nop 1
	v_addc_co_u32_e32 v25, vcc, 0, v3, vcc
	global_load_ushort v23, v[24:25], off offset:1024
.LBB104_41:
	;; [unrolled: 12-line block ×6, first 2 shown]
	s_or_b64 exec, exec, s[4:5]
	v_or_b32_e32 v28, 0x1700, v0
	v_cmp_gt_u32_e32 vcc, s26, v28
	s_and_saveexec_b64 s[4:5], vcc
	s_cbranch_execz .LBB104_51
; %bb.50:
	v_add_co_u32_e32 v2, vcc, 0x2000, v2
	s_nop 1
	v_addc_co_u32_e32 v3, vcc, 0, v3, vcc
	global_load_ushort v1, v[2:3], off offset:3584
.LBB104_51:
	s_or_b64 exec, exec, s[4:5]
	s_waitcnt vmcnt(0)
	ds_write_b16 v14, v4
	ds_write_b16 v14, v5 offset:512
	ds_write_b16 v14, v6 offset:1024
	;; [unrolled: 1-line block ×23, first 2 shown]
	s_waitcnt lgkmcnt(0)
	s_barrier
.LBB104_52:
	v_mul_u32_u24_e32 v22, 24, v0
	v_lshlrev_b32_e32 v1, 1, v22
	ds_read_b128 v[10:13], v1
	ds_read_b128 v[6:9], v1 offset:16
	ds_read_b128 v[2:5], v1 offset:32
	s_load_dwordx2 s[20:21], s[0:1], 0x20
	s_cmp_lg_u32 s2, 0
	v_mbcnt_lo_u32_b32 v24, -1, 0
	v_lshrrev_b32_e32 v15, 6, v0
	v_or_b32_e32 v23, 63, v0
	s_waitcnt lgkmcnt(0)
	s_barrier
	s_cbranch_scc0 .LBB104_83
; %bb.53:
	v_add_f16_sdwa v16, v10, v10 dst_sel:DWORD dst_unused:UNUSED_PAD src0_sel:DWORD src1_sel:WORD_1
	v_add_f16_e32 v16, v16, v11
	v_add_f16_sdwa v16, v16, v11 dst_sel:DWORD dst_unused:UNUSED_PAD src0_sel:DWORD src1_sel:WORD_1
	v_add_f16_e32 v16, v16, v12
	;; [unrolled: 2-line block ×11, first 2 shown]
	v_add_f16_sdwa v16, v16, v5 dst_sel:DWORD dst_unused:UNUSED_PAD src0_sel:DWORD src1_sel:WORD_1
	v_mbcnt_hi_u32_b32 v17, -1, v24
	v_and_b32_e32 v18, 15, v17
	v_mov_b32_dpp v19, v16 row_shr:1 row_mask:0xf bank_mask:0xf
	v_add_f16_e32 v19, v16, v19
	v_cmp_eq_u32_e32 vcc, 0, v18
	s_nop 1
	v_cndmask_b32_e32 v16, v19, v16, vcc
	v_and_b32_e32 v19, 0xffff, v16
	v_cmp_lt_u32_e32 vcc, 1, v18
	s_nop 0
	v_mov_b32_dpp v19, v19 row_shr:2 row_mask:0xf bank_mask:0xf
	v_add_f16_e32 v19, v16, v19
	v_cndmask_b32_e32 v16, v16, v19, vcc
	v_and_b32_e32 v19, 0xffff, v16
	v_cmp_lt_u32_e32 vcc, 3, v18
	s_nop 0
	v_mov_b32_dpp v19, v19 row_shr:4 row_mask:0xf bank_mask:0xf
	v_add_f16_e32 v19, v16, v19
	;; [unrolled: 6-line block ×3, first 2 shown]
	v_cndmask_b32_e32 v16, v16, v19, vcc
	v_and_b32_e32 v18, 0xffff, v16
	v_and_b32_e32 v19, 16, v17
	v_cmp_eq_u32_e32 vcc, 0, v19
	v_mov_b32_dpp v18, v18 row_bcast:15 row_mask:0xf bank_mask:0xf
	v_add_f16_e32 v18, v16, v18
	v_cndmask_b32_e32 v16, v18, v16, vcc
	v_and_b32_e32 v18, 0xffff, v16
	v_cmp_lt_u32_e32 vcc, 31, v17
	s_nop 0
	v_mov_b32_dpp v18, v18 row_bcast:31 row_mask:0xf bank_mask:0xf
	v_add_f16_e32 v18, v16, v18
	v_cndmask_b32_e32 v16, v16, v18, vcc
	v_cmp_eq_u32_e32 vcc, v23, v0
	s_and_saveexec_b64 s[4:5], vcc
	s_cbranch_execz .LBB104_55
; %bb.54:
	v_lshlrev_b32_e32 v18, 1, v15
	ds_write_b16 v18, v16
.LBB104_55:
	s_or_b64 exec, exec, s[4:5]
	v_cmp_gt_u32_e32 vcc, 4, v0
	s_waitcnt lgkmcnt(0)
	s_barrier
	s_and_saveexec_b64 s[4:5], vcc
	s_cbranch_execz .LBB104_57
; %bb.56:
	ds_read_u16 v18, v14
	v_and_b32_e32 v19, 3, v17
	v_cmp_eq_u32_e32 vcc, 0, v19
	s_waitcnt lgkmcnt(0)
	v_and_b32_e32 v20, 0xffff, v18
	s_nop 1
	v_mov_b32_dpp v20, v20 row_shr:1 row_mask:0xf bank_mask:0xf
	v_add_f16_e32 v20, v18, v20
	v_cndmask_b32_e32 v18, v20, v18, vcc
	v_and_b32_e32 v20, 0xffff, v18
	v_cmp_lt_u32_e32 vcc, 1, v19
	s_nop 0
	v_mov_b32_dpp v20, v20 row_shr:2 row_mask:0xf bank_mask:0xf
	v_add_f16_e32 v20, v18, v20
	v_cndmask_b32_e32 v18, v18, v20, vcc
	ds_write_b16 v14, v18
.LBB104_57:
	s_or_b64 exec, exec, s[4:5]
	v_cmp_gt_u32_e32 vcc, 64, v0
	v_cmp_lt_u32_e64 s[4:5], 63, v0
	s_waitcnt lgkmcnt(0)
	s_barrier
	s_waitcnt lgkmcnt(0)
                                        ; implicit-def: $vgpr25
	s_and_saveexec_b64 s[6:7], s[4:5]
	s_cbranch_execz .LBB104_59
; %bb.58:
	v_lshl_add_u32 v18, v15, 1, -2
	ds_read_u16 v25, v18
	s_waitcnt lgkmcnt(0)
	v_add_f16_e32 v16, v16, v25
.LBB104_59:
	s_or_b64 exec, exec, s[6:7]
	v_add_u32_e32 v18, -1, v17
	v_and_b32_e32 v19, 64, v17
	v_cmp_lt_i32_e64 s[4:5], v18, v19
	v_and_b32_e32 v16, 0xffff, v16
	v_cmp_eq_u32_e64 s[12:13], 0, v17
	v_cndmask_b32_e64 v18, v18, v17, s[4:5]
	v_lshlrev_b32_e32 v18, 2, v18
	ds_bpermute_b32 v26, v18, v16
	s_and_saveexec_b64 s[22:23], vcc
	s_cbranch_execz .LBB104_82
; %bb.60:
	v_mov_b32_e32 v19, 0
	ds_read_u16 v27, v19 offset:6
	s_and_saveexec_b64 s[4:5], s[12:13]
	s_cbranch_execz .LBB104_62
; %bb.61:
	s_add_i32 s6, s2, 64
	s_mov_b32 s7, 0
	s_lshl_b64 s[6:7], s[6:7], 2
	s_add_u32 s6, s20, s6
	s_addc_u32 s7, s21, s7
	s_waitcnt lgkmcnt(0)
	v_or_b32_e32 v16, 0x10000, v27
	global_store_dword v19, v16, s[6:7] sc1
.LBB104_62:
	s_or_b64 exec, exec, s[4:5]
	v_xad_u32 v16, v17, -1, s2
	v_add_u32_e32 v18, 64, v16
	v_lshl_add_u64 v[20:21], v[18:19], 2, s[20:21]
	global_load_dword v43, v[20:21], off sc1
	s_waitcnt vmcnt(0)
	v_lshrrev_b32_e32 v28, 16, v43
	v_cmp_eq_u16_sdwa s[6:7], v28, v19 src0_sel:BYTE_0 src1_sel:DWORD
	s_and_saveexec_b64 s[4:5], s[6:7]
	s_cbranch_execz .LBB104_66
; %bb.63:
	s_mov_b64 s[6:7], 0
	v_mov_b32_e32 v18, 0
.LBB104_64:                             ; =>This Inner Loop Header: Depth=1
	global_load_dword v43, v[20:21], off sc1
	s_waitcnt vmcnt(0)
	v_lshrrev_b32_e32 v28, 16, v43
	v_cmp_ne_u16_sdwa s[8:9], v28, v18 src0_sel:BYTE_0 src1_sel:DWORD
	s_or_b64 s[6:7], s[8:9], s[6:7]
	s_andn2_b64 exec, exec, s[6:7]
	s_cbranch_execnz .LBB104_64
; %bb.65:
	s_or_b64 exec, exec, s[6:7]
.LBB104_66:
	s_or_b64 exec, exec, s[4:5]
	v_and_b32_e32 v40, 63, v17
	v_cmp_ne_u32_e32 vcc, 63, v40
	v_mov_b32_e32 v29, 2
	v_cmp_eq_u16_sdwa s[4:5], v28, v29 src0_sel:BYTE_0 src1_sel:DWORD
	v_addc_co_u32_e32 v30, vcc, 0, v17, vcc
	v_lshlrev_b64 v[18:19], v17, -1
	v_and_b32_e32 v32, 0xffff, v43
	v_lshlrev_b32_e32 v30, 2, v30
	v_and_b32_e32 v20, s5, v19
	ds_bpermute_b32 v33, v30, v32
	v_or_b32_e32 v20, 0x80000000, v20
	v_and_b32_e32 v21, s4, v18
	v_ffbl_b32_e32 v20, v20
	v_add_u32_e32 v20, 32, v20
	v_ffbl_b32_e32 v21, v21
	v_cmp_gt_u32_e32 vcc, 62, v40
	v_min_u32_e32 v48, v21, v20
	v_add_u32_e32 v31, 1, v17
	v_cndmask_b32_e64 v21, 0, 1, vcc
	s_waitcnt lgkmcnt(0)
	v_add_f16_e32 v20, v43, v33
	v_cmp_le_u32_e64 s[6:7], v31, v48
	v_lshlrev_b32_e32 v21, 1, v21
	v_add_u32_e32 v33, 2, v17
	v_cndmask_b32_e64 v34, v32, v20, s[6:7]
	v_add_lshl_u32 v32, v21, v17, 2
	ds_bpermute_b32 v21, v32, v34
	v_cndmask_b32_e64 v35, v43, v20, s[6:7]
	v_cmp_le_u32_e32 vcc, v33, v48
	v_cmp_gt_u32_e64 s[4:5], 60, v40
	v_cmp_gt_u32_e64 s[8:9], 56, v40
	s_waitcnt lgkmcnt(0)
	v_add_f16_e32 v21, v21, v35
	v_cndmask_b32_e32 v36, v34, v21, vcc
	v_cndmask_b32_e64 v34, 0, 1, s[4:5]
	v_lshlrev_b32_e32 v34, 2, v34
	v_add_lshl_u32 v34, v34, v17, 2
	ds_bpermute_b32 v37, v34, v36
	v_cndmask_b32_e32 v38, v35, v21, vcc
	v_add_u32_e32 v35, 4, v17
	v_cmp_le_u32_e64 s[4:5], v35, v48
	s_or_b64 s[10:11], s[6:7], vcc
	s_waitcnt lgkmcnt(0)
	v_add_f16_e32 v42, v37, v38
	v_cndmask_b32_e64 v39, v36, v42, s[4:5]
	v_cndmask_b32_e64 v36, 0, 1, s[8:9]
	v_lshlrev_b32_e32 v36, 3, v36
	v_add_lshl_u32 v36, v36, v17, 2
	ds_bpermute_b32 v41, v36, v39
	v_cmp_gt_u32_e64 s[8:9], 48, v40
	v_cndmask_b32_e64 v45, v38, v42, s[4:5]
	v_add_u32_e32 v37, 8, v17
	v_cndmask_b32_e64 v38, 0, 1, s[8:9]
	s_waitcnt lgkmcnt(0)
	v_add_f16_e32 v44, v41, v45
	v_cmp_le_u32_e64 s[6:7], v37, v48
	v_lshlrev_b32_e32 v38, 4, v38
	v_add_lshl_u32 v38, v38, v17, 2
	v_cndmask_b32_e64 v41, v39, v44, s[6:7]
	ds_bpermute_b32 v46, v38, v41
	s_or_b64 s[8:9], s[4:5], s[10:11]
	v_cmp_gt_u32_e64 s[10:11], 32, v40
	v_cndmask_b32_e64 v45, v45, v44, s[6:7]
	v_add_u32_e32 v39, 16, v17
	v_cndmask_b32_e64 v40, 0, 1, s[10:11]
	s_or_b64 s[24:25], s[6:7], s[8:9]
	s_waitcnt lgkmcnt(0)
	v_add_f16_e32 v46, v46, v45
	v_cmp_le_u32_e64 s[8:9], v39, v48
	v_lshlrev_b32_e32 v40, 5, v40
	v_add_lshl_u32 v40, v40, v17, 2
	v_cndmask_b32_e64 v41, v41, v46, s[8:9]
	ds_bpermute_b32 v47, v40, v41
	v_add_u32_e32 v41, 32, v17
	s_or_b64 s[24:25], s[8:9], s[24:25]
	v_cmp_le_u32_e64 s[10:11], v41, v48
	s_or_b64 s[28:29], s[10:11], s[24:25]
	s_and_saveexec_b64 s[24:25], s[28:29]
	s_cbranch_execz .LBB104_68
; %bb.67:
	v_cndmask_b32_e32 v17, v20, v21, vcc
	v_cndmask_b32_e64 v17, v17, v42, s[4:5]
	v_cndmask_b32_e64 v17, v17, v44, s[6:7]
	v_cndmask_b32_e64 v20, v45, v46, s[8:9]
	v_cndmask_b32_e64 v17, v17, v46, s[8:9]
	s_waitcnt lgkmcnt(0)
	v_add_f16_e32 v20, v47, v20
	v_cndmask_b32_e64 v43, v17, v20, s[10:11]
.LBB104_68:
	s_or_b64 exec, exec, s[24:25]
	v_mov_b32_e32 v17, 0
	s_branch .LBB104_70
.LBB104_69:                             ;   in Loop: Header=BB104_70 Depth=1
                                        ; implicit-def: $vgpr43
                                        ; implicit-def: $vgpr28
	s_cbranch_execnz .LBB104_78
.LBB104_70:                             ; =>This Loop Header: Depth=1
                                        ;     Child Loop BB104_73 Depth 2
	v_cmp_ne_u16_sdwa s[4:5], v28, v29 src0_sel:BYTE_0 src1_sel:DWORD
	v_mov_b32_e32 v42, v43
	s_nop 0
	v_cndmask_b32_e64 v20, 0, 1, s[4:5]
	;;#ASMSTART
	;;#ASMEND
	s_nop 0
	v_cmp_ne_u32_e32 vcc, 0, v20
	s_cmp_lg_u64 vcc, exec
	s_cbranch_scc1 .LBB104_69
; %bb.71:                               ;   in Loop: Header=BB104_70 Depth=1
	v_lshl_add_u64 v[20:21], v[16:17], 2, s[20:21]
	global_load_dword v43, v[20:21], off sc1
	s_waitcnt vmcnt(0)
	v_lshrrev_b32_e32 v28, 16, v43
	v_cmp_eq_u16_sdwa s[6:7], v28, v17 src0_sel:BYTE_0 src1_sel:DWORD
	s_and_saveexec_b64 s[4:5], s[6:7]
	s_cbranch_execz .LBB104_75
; %bb.72:                               ;   in Loop: Header=BB104_70 Depth=1
	s_mov_b64 s[6:7], 0
.LBB104_73:                             ;   Parent Loop BB104_70 Depth=1
                                        ; =>  This Inner Loop Header: Depth=2
	global_load_dword v43, v[20:21], off sc1
	s_waitcnt vmcnt(0)
	v_lshrrev_b32_e32 v28, 16, v43
	v_cmp_ne_u16_sdwa s[8:9], v28, v17 src0_sel:BYTE_0 src1_sel:DWORD
	s_or_b64 s[6:7], s[8:9], s[6:7]
	s_andn2_b64 exec, exec, s[6:7]
	s_cbranch_execnz .LBB104_73
; %bb.74:                               ;   in Loop: Header=BB104_70 Depth=1
	s_or_b64 exec, exec, s[6:7]
.LBB104_75:                             ;   in Loop: Header=BB104_70 Depth=1
	s_or_b64 exec, exec, s[4:5]
	v_cmp_eq_u16_sdwa s[4:5], v28, v29 src0_sel:BYTE_0 src1_sel:DWORD
	v_and_b32_e32 v44, 0xffff, v43
	ds_bpermute_b32 v45, v30, v44
	v_and_b32_e32 v20, s5, v19
	v_or_b32_e32 v20, 0x80000000, v20
	v_and_b32_e32 v21, s4, v18
	v_ffbl_b32_e32 v20, v20
	v_add_u32_e32 v20, 32, v20
	v_ffbl_b32_e32 v21, v21
	v_min_u32_e32 v49, v21, v20
	s_waitcnt lgkmcnt(0)
	v_add_f16_e32 v20, v43, v45
	v_cmp_le_u32_e64 s[8:9], v31, v49
	v_cmp_le_u32_e32 vcc, v33, v49
	v_cmp_le_u32_e64 s[4:5], v35, v49
	v_cndmask_b32_e64 v44, v44, v20, s[8:9]
	ds_bpermute_b32 v21, v32, v44
	v_cndmask_b32_e64 v45, v43, v20, s[8:9]
	v_cmp_le_u32_e64 s[6:7], v37, v49
	s_or_b64 s[8:9], s[8:9], vcc
	s_or_b64 s[10:11], s[4:5], s[8:9]
	s_waitcnt lgkmcnt(0)
	v_add_f16_e32 v21, v21, v45
	v_cndmask_b32_e32 v46, v44, v21, vcc
	ds_bpermute_b32 v44, v34, v46
	v_cndmask_b32_e32 v45, v45, v21, vcc
	v_cmp_le_u32_e64 s[8:9], v39, v49
	s_or_b64 s[10:11], s[6:7], s[10:11]
	s_or_b64 s[24:25], s[8:9], s[10:11]
	s_waitcnt lgkmcnt(0)
	v_add_f16_e32 v44, v44, v45
	v_cndmask_b32_e64 v46, v46, v44, s[4:5]
	ds_bpermute_b32 v47, v36, v46
	v_cndmask_b32_e64 v48, v45, v44, s[4:5]
	v_cmp_le_u32_e64 s[10:11], v41, v49
	s_or_b64 s[28:29], s[10:11], s[24:25]
	s_waitcnt lgkmcnt(0)
	v_add_f16_e32 v45, v47, v48
	v_cndmask_b32_e64 v50, v46, v45, s[6:7]
	ds_bpermute_b32 v47, v38, v50
	v_cndmask_b32_e64 v46, v48, v45, s[6:7]
	s_waitcnt lgkmcnt(0)
	v_add_f16_e32 v47, v47, v46
	v_cndmask_b32_e64 v48, v50, v47, s[8:9]
	ds_bpermute_b32 v48, v40, v48
	s_and_saveexec_b64 s[24:25], s[28:29]
	s_cbranch_execz .LBB104_77
; %bb.76:                               ;   in Loop: Header=BB104_70 Depth=1
	v_cndmask_b32_e32 v20, v20, v21, vcc
	v_cndmask_b32_e64 v20, v20, v44, s[4:5]
	v_cndmask_b32_e64 v20, v20, v45, s[6:7]
	;; [unrolled: 1-line block ×4, first 2 shown]
	s_waitcnt lgkmcnt(0)
	v_add_f16_e32 v21, v48, v21
	v_cndmask_b32_e64 v43, v20, v21, s[10:11]
.LBB104_77:                             ;   in Loop: Header=BB104_70 Depth=1
	s_or_b64 exec, exec, s[24:25]
	v_subrev_u32_e32 v16, 64, v16
	v_add_f16_e32 v43, v43, v42
	s_branch .LBB104_70
.LBB104_78:
	s_and_saveexec_b64 s[4:5], s[12:13]
	s_cbranch_execz .LBB104_80
; %bb.79:
	s_add_i32 s2, s2, 64
	s_mov_b32 s3, 0
	s_lshl_b64 s[2:3], s[2:3], 2
	s_add_u32 s2, s20, s2
	v_add_f16_e32 v17, v27, v42
	s_addc_u32 s3, s21, s3
	v_mov_b32_e32 v16, 0
	v_or_b32_e32 v17, 0x20000, v17
	global_store_dword v16, v17, s[2:3] sc1
.LBB104_80:
	s_or_b64 exec, exec, s[4:5]
	v_cmp_eq_u32_e32 vcc, 0, v0
	s_and_b64 exec, exec, vcc
	s_cbranch_execz .LBB104_82
; %bb.81:
	v_mov_b32_e32 v16, 0
	ds_write_b16 v16, v42 offset:6
.LBB104_82:
	s_or_b64 exec, exec, s[22:23]
	v_mov_b32_e32 v16, 0
	s_waitcnt lgkmcnt(0)
	s_barrier
	ds_read_u16 v16, v16 offset:6
	v_cndmask_b32_e64 v17, v26, v25, s[12:13]
	v_add_f16_e32 v17, v10, v17
	v_cmp_eq_u32_e32 vcc, 0, v0
	s_nop 1
	v_cndmask_b32_e32 v17, v17, v10, vcc
	s_waitcnt lgkmcnt(0)
	v_add_f16_e32 v17, v17, v16
	v_add_f16_sdwa v16, v17, v10 dst_sel:DWORD dst_unused:UNUSED_PAD src0_sel:DWORD src1_sel:WORD_1
	v_add_f16_e32 v18, v16, v11
	v_add_f16_sdwa v19, v18, v11 dst_sel:DWORD dst_unused:UNUSED_PAD src0_sel:DWORD src1_sel:WORD_1
	;; [unrolled: 2-line block ×12, first 2 shown]
	s_load_dwordx4 s[4:7], s[0:1], 0x30
	s_branch .LBB104_95
.LBB104_83:
                                        ; implicit-def: $vgpr17
                                        ; implicit-def: $vgpr16
                                        ; implicit-def: $vgpr18
                                        ; implicit-def: $vgpr19
                                        ; implicit-def: $vgpr20
                                        ; implicit-def: $vgpr25
                                        ; implicit-def: $vgpr27
                                        ; implicit-def: $vgpr29
                                        ; implicit-def: $vgpr21
                                        ; implicit-def: $vgpr26
                                        ; implicit-def: $vgpr28
                                        ; implicit-def: $vgpr30
                                        ; implicit-def: $vgpr31
                                        ; implicit-def: $vgpr33
                                        ; implicit-def: $vgpr35
                                        ; implicit-def: $vgpr37
                                        ; implicit-def: $vgpr32
                                        ; implicit-def: $vgpr34
                                        ; implicit-def: $vgpr36
                                        ; implicit-def: $vgpr38
                                        ; implicit-def: $vgpr39
                                        ; implicit-def: $vgpr40
                                        ; implicit-def: $vgpr41
                                        ; implicit-def: $vgpr42
	s_load_dwordx4 s[4:7], s[0:1], 0x30
	s_cbranch_execz .LBB104_95
; %bb.84:
	s_load_dword s2, s[0:1], 0x40
	v_cmp_eq_u32_e32 vcc, 0, v0
	v_mov_b32_e32 v42, v10
	s_waitcnt lgkmcnt(0)
	s_bitcmp1_b32 s2, 0
	s_cselect_b64 s[2:3], -1, 0
	s_and_b64 s[8:9], vcc, s[2:3]
	s_and_saveexec_b64 s[2:3], s[8:9]
	s_cbranch_execz .LBB104_86
; %bb.85:
	v_mov_b32_e32 v16, 0
	global_load_ushort v16, v16, s[4:5]
	s_waitcnt vmcnt(0)
	v_add_f16_e32 v42, v16, v10
.LBB104_86:
	s_or_b64 exec, exec, s[2:3]
	v_add_f16_sdwa v16, v10, v42 dst_sel:DWORD dst_unused:UNUSED_PAD src0_sel:WORD_1 src1_sel:DWORD
	v_add_f16_e32 v16, v16, v11
	v_add_f16_sdwa v16, v16, v11 dst_sel:DWORD dst_unused:UNUSED_PAD src0_sel:DWORD src1_sel:WORD_1
	v_add_f16_e32 v16, v16, v12
	v_add_f16_sdwa v16, v16, v12 dst_sel:DWORD dst_unused:UNUSED_PAD src0_sel:DWORD src1_sel:WORD_1
	;; [unrolled: 2-line block ×11, first 2 shown]
	v_mbcnt_hi_u32_b32 v16, -1, v24
	v_and_b32_e32 v18, 15, v16
	v_mov_b32_dpp v19, v17 row_shr:1 row_mask:0xf bank_mask:0xf
	v_add_f16_e32 v19, v17, v19
	v_cmp_eq_u32_e64 s[2:3], 0, v18
	s_nop 1
	v_cndmask_b32_e64 v17, v19, v17, s[2:3]
	v_and_b32_e32 v19, 0xffff, v17
	v_cmp_lt_u32_e64 s[2:3], 1, v18
	s_nop 0
	v_mov_b32_dpp v19, v19 row_shr:2 row_mask:0xf bank_mask:0xf
	v_add_f16_e32 v19, v17, v19
	v_cndmask_b32_e64 v17, v17, v19, s[2:3]
	v_and_b32_e32 v19, 0xffff, v17
	v_cmp_lt_u32_e64 s[2:3], 3, v18
	s_nop 0
	v_mov_b32_dpp v19, v19 row_shr:4 row_mask:0xf bank_mask:0xf
	v_add_f16_e32 v19, v17, v19
	;; [unrolled: 6-line block ×3, first 2 shown]
	v_cndmask_b32_e64 v17, v17, v19, s[2:3]
	v_and_b32_e32 v18, 0xffff, v17
	v_and_b32_e32 v19, 16, v16
	v_cmp_eq_u32_e64 s[2:3], 0, v19
	v_mov_b32_dpp v18, v18 row_bcast:15 row_mask:0xf bank_mask:0xf
	v_add_f16_e32 v18, v17, v18
	v_cndmask_b32_e64 v17, v18, v17, s[2:3]
	v_and_b32_e32 v18, 0xffff, v17
	v_cmp_lt_u32_e64 s[2:3], 31, v16
	s_nop 0
	v_mov_b32_dpp v18, v18 row_bcast:31 row_mask:0xf bank_mask:0xf
	v_add_f16_e32 v18, v17, v18
	v_cndmask_b32_e64 v17, v17, v18, s[2:3]
	v_cmp_eq_u32_e64 s[2:3], v23, v0
	s_and_saveexec_b64 s[4:5], s[2:3]
	s_cbranch_execz .LBB104_88
; %bb.87:
	v_lshlrev_b32_e32 v18, 1, v15
	ds_write_b16 v18, v17
.LBB104_88:
	s_or_b64 exec, exec, s[4:5]
	v_cmp_gt_u32_e64 s[2:3], 4, v0
	s_waitcnt lgkmcnt(0)
	s_barrier
	s_and_saveexec_b64 s[4:5], s[2:3]
	s_cbranch_execz .LBB104_90
; %bb.89:
	s_movk_i32 s2, 0xffd2
	v_mad_i32_i24 v18, v0, s2, v1
	ds_read_u16 v19, v18
	v_and_b32_e32 v20, 3, v16
	v_cmp_eq_u32_e64 s[2:3], 0, v20
	s_waitcnt lgkmcnt(0)
	v_and_b32_e32 v21, 0xffff, v19
	s_nop 1
	v_mov_b32_dpp v21, v21 row_shr:1 row_mask:0xf bank_mask:0xf
	v_add_f16_e32 v21, v19, v21
	v_cndmask_b32_e64 v19, v21, v19, s[2:3]
	v_and_b32_e32 v21, 0xffff, v19
	v_cmp_lt_u32_e64 s[2:3], 1, v20
	s_nop 0
	v_mov_b32_dpp v21, v21 row_shr:2 row_mask:0xf bank_mask:0xf
	v_add_f16_e32 v21, v19, v21
	v_cndmask_b32_e64 v19, v19, v21, s[2:3]
	ds_write_b16 v18, v19
.LBB104_90:
	s_or_b64 exec, exec, s[4:5]
	v_cmp_lt_u32_e64 s[2:3], 63, v0
	s_waitcnt lgkmcnt(0)
	s_barrier
	s_waitcnt lgkmcnt(0)
                                        ; implicit-def: $vgpr18
	s_and_saveexec_b64 s[4:5], s[2:3]
	s_cbranch_execz .LBB104_92
; %bb.91:
	v_lshl_add_u32 v15, v15, 1, -2
	ds_read_u16 v18, v15
	s_waitcnt lgkmcnt(0)
	v_add_f16_e32 v17, v17, v18
.LBB104_92:
	s_or_b64 exec, exec, s[4:5]
	v_and_b32_e32 v15, 0xffff, v17
	v_add_u32_e32 v17, -1, v16
	v_and_b32_e32 v19, 64, v16
	v_cmp_lt_i32_e64 s[2:3], v17, v19
	s_nop 1
	v_cndmask_b32_e64 v17, v17, v16, s[2:3]
	v_lshlrev_b32_e32 v17, 2, v17
	ds_bpermute_b32 v15, v17, v15
	v_cmp_eq_u32_e64 s[2:3], 0, v16
	s_waitcnt lgkmcnt(0)
	s_nop 0
	v_cndmask_b32_e64 v15, v15, v18, s[2:3]
	v_add_f16_e32 v17, v42, v15
	v_cndmask_b32_e32 v15, v17, v42, vcc
	v_add_f16_sdwa v16, v15, v10 dst_sel:DWORD dst_unused:UNUSED_PAD src0_sel:DWORD src1_sel:WORD_1
	v_add_f16_e32 v18, v16, v11
	v_add_f16_sdwa v19, v18, v11 dst_sel:DWORD dst_unused:UNUSED_PAD src0_sel:DWORD src1_sel:WORD_1
	v_add_f16_e32 v20, v19, v12
	;; [unrolled: 2-line block ×11, first 2 shown]
	s_and_saveexec_b64 s[2:3], vcc
	s_cbranch_execz .LBB104_94
; %bb.93:
	v_mov_b32_e32 v2, 0
	ds_read_u16 v3, v2 offset:6
	v_mov_b32_e32 v17, v42
	s_waitcnt lgkmcnt(0)
	v_or_b32_e32 v3, 0x20000, v3
	global_store_dword v2, v3, s[20:21] offset:256 sc1
.LBB104_94:
	s_or_b64 exec, exec, s[2:3]
	v_add_f16_sdwa v42, v41, v5 dst_sel:DWORD dst_unused:UNUSED_PAD src0_sel:DWORD src1_sel:WORD_1
.LBB104_95:
	s_add_u32 s2, s14, s18
	s_addc_u32 s3, s15, s19
	s_waitcnt lgkmcnt(0)
	s_mov_b64 s[4:5], -1
	s_and_b64 vcc, exec, s[16:17]
	s_barrier
	s_cbranch_vccz .LBB104_97
; %bb.96:
	s_mov_b32 s4, 0x5040100
	v_perm_b32 v5, v29, v27, s4
	v_perm_b32 v4, v25, v20, s4
	v_perm_b32 v3, v19, v18, s4
	v_perm_b32 v2, v16, v17, s4
	ds_write_b128 v1, v[2:5]
	v_perm_b32 v5, v37, v35, s4
	v_perm_b32 v4, v33, v31, s4
	;; [unrolled: 1-line block ×4, first 2 shown]
	ds_write_b128 v1, v[2:5] offset:16
	v_perm_b32 v5, v42, v41, s4
	v_perm_b32 v4, v40, v39, s4
	;; [unrolled: 1-line block ×4, first 2 shown]
	v_mov_b32_e32 v15, 0
	ds_write_b128 v1, v[2:5] offset:32
	s_waitcnt lgkmcnt(0)
	s_barrier
	ds_read_u16 v4, v14
	ds_read_u16 v5, v14 offset:512
	ds_read_u16 v6, v14 offset:1024
	;; [unrolled: 1-line block ×23, first 2 shown]
	v_lshl_add_u64 v[2:3], s[2:3], 0, v[14:15]
	s_movk_i32 s4, 0x1000
	s_waitcnt lgkmcnt(14)
	global_store_short v14, v4, s[2:3]
	global_store_short v14, v5, s[2:3] offset:512
	global_store_short v14, v6, s[2:3] offset:1024
	;; [unrolled: 1-line block ×7, first 2 shown]
	v_add_co_u32_e32 v4, vcc, s4, v2
	s_mov_b64 s[4:5], 0
	s_nop 0
	v_addc_co_u32_e32 v5, vcc, 0, v3, vcc
	v_add_co_u32_e32 v2, vcc, 0x2000, v2
	global_store_short v[4:5], v12, off
	global_store_short v[4:5], v13, off offset:512
	s_waitcnt lgkmcnt(13)
	global_store_short v[4:5], v23, off offset:1024
	s_waitcnt lgkmcnt(12)
	;; [unrolled: 2-line block ×6, first 2 shown]
	global_store_short v[4:5], v46, off offset:3584
	v_addc_co_u32_e32 v3, vcc, 0, v3, vcc
	s_waitcnt lgkmcnt(7)
	global_store_short v[2:3], v47, off
	s_waitcnt lgkmcnt(6)
	global_store_short v[2:3], v48, off offset:512
	s_waitcnt lgkmcnt(5)
	global_store_short v[2:3], v49, off offset:1024
	;; [unrolled: 2-line block ×7, first 2 shown]
.LBB104_97:
	s_andn2_b64 vcc, exec, s[4:5]
	s_cbranch_vccnz .LBB104_154
; %bb.98:
	s_mov_b32 s4, 0x5040100
	v_perm_b32 v5, v29, v27, s4
	v_perm_b32 v4, v25, v20, s4
	;; [unrolled: 1-line block ×4, first 2 shown]
	ds_write_b128 v1, v[2:5]
	v_perm_b32 v5, v37, v35, s4
	v_perm_b32 v4, v33, v31, s4
	;; [unrolled: 1-line block ×4, first 2 shown]
	ds_write_b128 v1, v[2:5] offset:16
	v_perm_b32 v5, v42, v41, s4
	v_perm_b32 v4, v40, v39, s4
	;; [unrolled: 1-line block ×4, first 2 shown]
	s_movk_i32 s4, 0xffd2
	ds_write_b128 v1, v[2:5] offset:32
	v_mad_i32_i24 v1, v0, s4, v1
	s_waitcnt lgkmcnt(0)
	s_barrier
	ds_read_u16 v5, v1
	ds_read_u16 v4, v1 offset:512
	ds_read_u16 v7, v1 offset:1024
	;; [unrolled: 1-line block ×23, first 2 shown]
	v_mov_b32_e32 v15, 0
	v_lshl_add_u64 v[2:3], s[2:3], 0, v[14:15]
	v_cmp_gt_u32_e32 vcc, s26, v0
	s_and_saveexec_b64 s[2:3], vcc
	s_cbranch_execz .LBB104_100
; %bb.99:
	s_waitcnt lgkmcnt(14)
	global_store_short v[2:3], v5, off
.LBB104_100:
	s_or_b64 exec, exec, s[2:3]
	v_or_b32_e32 v1, 0x100, v0
	v_cmp_gt_u32_e32 vcc, s26, v1
	s_and_saveexec_b64 s[2:3], vcc
	s_cbranch_execz .LBB104_102
; %bb.101:
	s_waitcnt lgkmcnt(14)
	global_store_short v[2:3], v4, off offset:512
.LBB104_102:
	s_or_b64 exec, exec, s[2:3]
	v_or_b32_e32 v1, 0x200, v0
	v_cmp_gt_u32_e32 vcc, s26, v1
	s_and_saveexec_b64 s[2:3], vcc
	s_cbranch_execz .LBB104_104
; %bb.103:
	s_waitcnt lgkmcnt(14)
	global_store_short v[2:3], v7, off offset:1024
.LBB104_104:
	s_or_b64 exec, exec, s[2:3]
	v_or_b32_e32 v1, 0x300, v0
	v_cmp_gt_u32_e32 vcc, s26, v1
	s_and_saveexec_b64 s[2:3], vcc
	s_cbranch_execz .LBB104_106
; %bb.105:
	s_waitcnt lgkmcnt(14)
	global_store_short v[2:3], v8, off offset:1536
.LBB104_106:
	s_or_b64 exec, exec, s[2:3]
	v_or_b32_e32 v1, 0x400, v0
	v_cmp_gt_u32_e32 vcc, s26, v1
	s_and_saveexec_b64 s[2:3], vcc
	s_cbranch_execz .LBB104_108
; %bb.107:
	s_waitcnt lgkmcnt(14)
	global_store_short v[2:3], v6, off offset:2048
.LBB104_108:
	s_or_b64 exec, exec, s[2:3]
	v_or_b32_e32 v1, 0x500, v0
	v_cmp_gt_u32_e32 vcc, s26, v1
	s_and_saveexec_b64 s[2:3], vcc
	s_cbranch_execz .LBB104_110
; %bb.109:
	s_waitcnt lgkmcnt(14)
	global_store_short v[2:3], v9, off offset:2560
.LBB104_110:
	s_or_b64 exec, exec, s[2:3]
	v_or_b32_e32 v1, 0x600, v0
	v_cmp_gt_u32_e32 vcc, s26, v1
	s_and_saveexec_b64 s[2:3], vcc
	s_cbranch_execz .LBB104_112
; %bb.111:
	s_waitcnt lgkmcnt(14)
	global_store_short v[2:3], v19, off offset:3072
.LBB104_112:
	s_or_b64 exec, exec, s[2:3]
	v_or_b32_e32 v1, 0x700, v0
	v_cmp_gt_u32_e32 vcc, s26, v1
	s_and_saveexec_b64 s[2:3], vcc
	s_cbranch_execz .LBB104_114
; %bb.113:
	s_waitcnt lgkmcnt(14)
	global_store_short v[2:3], v17, off offset:3584
.LBB104_114:
	s_or_b64 exec, exec, s[2:3]
	v_or_b32_e32 v1, 0x800, v0
	v_cmp_gt_u32_e32 vcc, s26, v1
	s_and_saveexec_b64 s[2:3], vcc
	s_cbranch_execz .LBB104_116
; %bb.115:
	v_add_co_u32_e32 v32, vcc, 0x1000, v2
	s_nop 1
	v_addc_co_u32_e32 v33, vcc, 0, v3, vcc
	s_waitcnt lgkmcnt(14)
	global_store_short v[32:33], v18, off
.LBB104_116:
	s_or_b64 exec, exec, s[2:3]
	v_or_b32_e32 v1, 0x900, v0
	v_cmp_gt_u32_e32 vcc, s26, v1
	s_and_saveexec_b64 s[2:3], vcc
	s_cbranch_execz .LBB104_118
; %bb.117:
	v_add_co_u32_e32 v32, vcc, 0x1000, v2
	s_nop 1
	v_addc_co_u32_e32 v33, vcc, 0, v3, vcc
	s_waitcnt lgkmcnt(14)
	global_store_short v[32:33], v26, off offset:512
.LBB104_118:
	s_or_b64 exec, exec, s[2:3]
	v_or_b32_e32 v1, 0xa00, v0
	v_cmp_gt_u32_e32 vcc, s26, v1
	s_and_saveexec_b64 s[2:3], vcc
	s_cbranch_execz .LBB104_120
; %bb.119:
	v_add_co_u32_e32 v32, vcc, 0x1000, v2
	s_nop 1
	v_addc_co_u32_e32 v33, vcc, 0, v3, vcc
	s_waitcnt lgkmcnt(13)
	global_store_short v[32:33], v23, off offset:1024
.LBB104_120:
	;; [unrolled: 12-line block ×7, first 2 shown]
	s_or_b64 exec, exec, s[2:3]
	v_or_b32_e32 v1, 0x1000, v0
	v_cmp_gt_u32_e32 vcc, s26, v1
	s_and_saveexec_b64 s[2:3], vcc
	s_cbranch_execz .LBB104_132
; %bb.131:
	v_add_co_u32_e32 v32, vcc, 0x2000, v2
	s_nop 1
	v_addc_co_u32_e32 v33, vcc, 0, v3, vcc
	s_waitcnt lgkmcnt(7)
	global_store_short v[32:33], v25, off
.LBB104_132:
	s_or_b64 exec, exec, s[2:3]
	v_or_b32_e32 v1, 0x1100, v0
	v_cmp_gt_u32_e32 vcc, s26, v1
	s_and_saveexec_b64 s[2:3], vcc
	s_cbranch_execz .LBB104_134
; %bb.133:
	v_add_co_u32_e32 v32, vcc, 0x2000, v2
	s_nop 1
	v_addc_co_u32_e32 v33, vcc, 0, v3, vcc
	s_waitcnt lgkmcnt(6)
	global_store_short v[32:33], v28, off offset:512
.LBB104_134:
	s_or_b64 exec, exec, s[2:3]
	v_or_b32_e32 v1, 0x1200, v0
	v_cmp_gt_u32_e32 vcc, s26, v1
	s_and_saveexec_b64 s[2:3], vcc
	s_cbranch_execz .LBB104_136
; %bb.135:
	v_add_co_u32_e32 v32, vcc, 0x2000, v2
	s_nop 1
	v_addc_co_u32_e32 v33, vcc, 0, v3, vcc
	s_waitcnt lgkmcnt(5)
	global_store_short v[32:33], v27, off offset:1024
.LBB104_136:
	;; [unrolled: 12-line block ×7, first 2 shown]
	s_or_b64 exec, exec, s[2:3]
	s_load_dword s0, s[0:1], 0x40
	s_waitcnt lgkmcnt(0)
	s_bfe_u32 s0, s0, 0x10008
	s_cmp_eq_u32 s0, 0
	s_cbranch_scc1 .LBB104_154
; %bb.147:
	s_add_u32 s0, s26, -1
	s_addc_u32 s1, s27, -1
	s_add_u32 s2, 0, 0xaaaa0000
	s_addc_u32 s3, 0, 42
	s_add_i32 s3, s3, 0xaaaaa80
	s_mul_hi_u32 s9, s2, 0xffffffe8
	s_sub_i32 s9, s9, s2
	s_mul_i32 s10, s3, 0xffffffe8
	s_mul_i32 s4, s2, 0xffffffe8
	s_add_i32 s9, s9, s10
	s_mul_hi_u32 s5, s3, s4
	s_mul_i32 s8, s3, s4
	s_mul_i32 s11, s2, s9
	s_mul_hi_u32 s4, s2, s4
	s_mul_hi_u32 s10, s2, s9
	s_add_u32 s4, s4, s11
	s_addc_u32 s10, 0, s10
	s_add_u32 s4, s4, s8
	s_mul_hi_u32 s11, s3, s9
	s_addc_u32 s4, s10, s5
	s_addc_u32 s5, s11, 0
	s_mul_i32 s8, s3, s9
	s_add_u32 s4, s4, s8
	v_mov_b32_e32 v2, s4
	s_addc_u32 s5, 0, s5
	v_add_co_u32_e32 v2, vcc, s2, v2
	s_cmp_lg_u64 vcc, 0
	s_addc_u32 s2, s3, s5
	v_readfirstlane_b32 s5, v2
	s_mul_i32 s4, s0, s2
	s_mul_hi_u32 s8, s0, s5
	s_mul_hi_u32 s3, s0, s2
	s_add_u32 s4, s8, s4
	s_addc_u32 s3, 0, s3
	s_mul_hi_u32 s9, s1, s5
	s_mul_i32 s5, s1, s5
	s_add_u32 s4, s4, s5
	s_mul_hi_u32 s8, s1, s2
	s_addc_u32 s3, s3, s9
	s_addc_u32 s4, s8, 0
	s_mul_i32 s2, s1, s2
	s_add_u32 s2, s3, s2
	s_addc_u32 s3, 0, s4
	s_add_u32 s4, s2, 1
	s_addc_u32 s5, s3, 0
	s_add_u32 s8, s2, 2
	s_mul_i32 s10, s3, 24
	s_mul_hi_u32 s11, s2, 24
	s_addc_u32 s9, s3, 0
	s_add_i32 s11, s11, s10
	s_mul_i32 s10, s2, 24
	v_mov_b32_e32 v2, s10
	v_sub_co_u32_e32 v2, vcc, s0, v2
	s_cmp_lg_u64 vcc, 0
	s_subb_u32 s10, s1, s11
	v_subrev_co_u32_e32 v3, vcc, 24, v2
	s_cmp_lg_u64 vcc, 0
	s_subb_u32 s11, s10, 0
	v_readfirstlane_b32 s12, v3
	s_cmp_gt_u32 s12, 23
	s_cselect_b32 s12, -1, 0
	s_cmp_eq_u32 s11, 0
	s_cselect_b32 s11, s12, -1
	s_cmp_lg_u32 s11, 0
	s_cselect_b32 s4, s8, s4
	v_readfirstlane_b32 s8, v2
	s_cselect_b32 s5, s9, s5
	s_cmp_gt_u32 s8, 23
	s_cselect_b32 s8, -1, 0
	s_cmp_eq_u32 s10, 0
	s_cselect_b32 s8, s8, -1
	s_cmp_lg_u32 s8, 0
	v_mov_b32_e32 v1, v15
	s_cselect_b32 s3, s5, s3
	s_cselect_b32 s2, s4, s2
	v_cmp_eq_u64_e32 vcc, s[2:3], v[0:1]
	s_and_saveexec_b64 s[2:3], vcc
	s_cbranch_execz .LBB104_154
; %bb.148:
	v_mul_hi_u32_u24_e32 v1, 24, v0
	v_mov_b32_e32 v2, s1
	v_sub_co_u32_e32 v0, vcc, s0, v22
	s_mov_b64 s[0:1], 0
	s_nop 0
	v_subb_co_u32_e32 v1, vcc, v2, v1, vcc
	v_cmp_lt_i64_e32 vcc, 11, v[0:1]
	s_mov_b64 s[10:11], 0
	s_mov_b64 s[8:9], 0
	;; [unrolled: 1-line block ×3, first 2 shown]
	s_and_saveexec_b64 s[2:3], vcc
	s_xor_b64 s[2:3], exec, s[2:3]
	s_cbranch_execnz .LBB104_155
; %bb.149:
	s_andn2_saveexec_b64 s[2:3], s[2:3]
	s_cbranch_execnz .LBB104_200
.LBB104_150:
	s_or_b64 exec, exec, s[2:3]
	s_and_saveexec_b64 s[2:3], s[10:11]
	s_cbranch_execnz .LBB104_217
.LBB104_151:
	s_or_b64 exec, exec, s[2:3]
	s_and_saveexec_b64 s[2:3], s[8:9]
	s_cbranch_execnz .LBB104_218
.LBB104_152:
	s_or_b64 exec, exec, s[2:3]
	s_and_saveexec_b64 s[2:3], s[4:5]
	s_xor_b64 s[2:3], exec, s[2:3]
	s_cbranch_execnz .LBB104_219
.LBB104_153:
	s_or_b64 exec, exec, s[2:3]
	s_and_b64 exec, exec, s[0:1]
	s_cbranch_execnz .LBB104_220
.LBB104_154:
	s_endpgm
.LBB104_155:
	v_cmp_lt_i64_e32 vcc, 17, v[0:1]
	s_and_saveexec_b64 s[12:13], vcc
	s_xor_b64 s[12:13], exec, s[12:13]
	s_cbranch_execz .LBB104_177
; %bb.156:
	v_cmp_lt_i64_e32 vcc, 20, v[0:1]
                                        ; implicit-def: $vgpr10
	s_and_saveexec_b64 s[14:15], vcc
	s_xor_b64 s[14:15], exec, s[14:15]
	s_cbranch_execz .LBB104_166
; %bb.157:
	v_cmp_lt_i64_e32 vcc, 21, v[0:1]
	s_mov_b64 s[16:17], 0
                                        ; implicit-def: $vgpr10
	s_and_saveexec_b64 s[4:5], vcc
	s_xor_b64 s[4:5], exec, s[4:5]
	s_cbranch_execz .LBB104_163
; %bb.158:
	v_cmp_lt_i64_e32 vcc, 22, v[0:1]
	s_and_saveexec_b64 s[16:17], vcc
	s_xor_b64 s[16:17], exec, s[16:17]
	s_cbranch_execz .LBB104_160
; %bb.159:
	v_mov_b32_e32 v2, 0
	global_store_short v2, v30, s[6:7]
                                        ; implicit-def: $vgpr29
.LBB104_160:
	s_or_saveexec_b64 s[16:17], s[16:17]
	s_mov_b64 s[18:19], 0
	s_xor_b64 exec, exec, s[16:17]
; %bb.161:
	s_mov_b64 s[18:19], exec
; %bb.162:
	s_or_b64 exec, exec, s[16:17]
	s_and_b64 s[16:17], s[18:19], exec
	v_mov_b32_e32 v10, v29
                                        ; implicit-def: $vgpr11
.LBB104_163:
	s_andn2_saveexec_b64 s[4:5], s[4:5]
; %bb.164:
	s_mov_b64 s[8:9], exec
                                        ; implicit-def: $vgpr10
; %bb.165:
	s_or_b64 exec, exec, s[4:5]
	s_and_b64 s[4:5], s[16:17], exec
	s_and_b64 s[8:9], s[8:9], exec
                                        ; implicit-def: $vgpr27
                                        ; implicit-def: $vgpr12
                                        ; implicit-def: $vgpr24
.LBB104_166:
	s_andn2_saveexec_b64 s[14:15], s[14:15]
	s_cbranch_execz .LBB104_176
; %bb.167:
	v_cmp_lt_i64_e32 vcc, 18, v[0:1]
	s_mov_b64 s[16:17], 0
	s_and_saveexec_b64 s[10:11], vcc
	s_xor_b64 s[10:11], exec, s[10:11]
	s_cbranch_execz .LBB104_173
; %bb.168:
	v_cmp_lt_i64_e32 vcc, 19, v[0:1]
	s_and_saveexec_b64 s[18:19], vcc
	s_xor_b64 s[18:19], exec, s[18:19]
; %bb.169:
	s_mov_b64 s[16:17], exec
                                        ; implicit-def: $vgpr24
; %bb.170:
	s_andn2_saveexec_b64 s[18:19], s[18:19]
	s_cbranch_execz .LBB104_172
; %bb.171:
	v_mov_b32_e32 v2, 0
	global_store_short v2, v24, s[6:7]
                                        ; implicit-def: $vgpr12
.LBB104_172:
	s_or_b64 exec, exec, s[18:19]
	s_and_b64 s[16:17], s[16:17], exec
                                        ; implicit-def: $vgpr27
.LBB104_173:
	s_andn2_saveexec_b64 s[10:11], s[10:11]
	s_cbranch_execz .LBB104_175
; %bb.174:
	v_mov_b32_e32 v2, 0
	global_store_short v2, v27, s[6:7]
                                        ; implicit-def: $vgpr12
.LBB104_175:
	s_or_b64 exec, exec, s[10:11]
	s_and_b64 s[10:11], s[16:17], exec
                                        ; implicit-def: $vgpr10
                                        ; implicit-def: $vgpr11
.LBB104_176:
	s_or_b64 exec, exec, s[14:15]
	s_and_b64 s[4:5], s[4:5], exec
	s_and_b64 s[8:9], s[8:9], exec
	s_and_b64 s[10:11], s[10:11], exec
                                        ; implicit-def: $vgpr20
                                        ; implicit-def: $vgpr13
                                        ; implicit-def: $vgpr16
                                        ; implicit-def: $vgpr25
                                        ; implicit-def: $vgpr28
.LBB104_177:
	s_andn2_saveexec_b64 s[12:13], s[12:13]
	s_cbranch_execz .LBB104_199
; %bb.178:
	v_cmp_lt_i64_e32 vcc, 14, v[0:1]
	s_mov_b64 s[14:15], s[4:5]
	s_and_saveexec_b64 s[16:17], vcc
	s_xor_b64 s[16:17], exec, s[16:17]
	s_cbranch_execz .LBB104_188
; %bb.179:
	v_cmp_lt_i64_e32 vcc, 15, v[0:1]
	s_and_saveexec_b64 s[14:15], vcc
	s_xor_b64 s[14:15], exec, s[14:15]
	s_cbranch_execz .LBB104_185
; %bb.180:
	v_cmp_lt_i64_e32 vcc, 16, v[0:1]
	s_and_saveexec_b64 s[18:19], vcc
	s_xor_b64 s[18:19], exec, s[18:19]
	s_cbranch_execz .LBB104_182
; %bb.181:
	v_mov_b32_e32 v2, 0
	global_store_short v2, v28, s[6:7]
                                        ; implicit-def: $vgpr25
.LBB104_182:
	s_andn2_saveexec_b64 s[18:19], s[18:19]
	s_cbranch_execz .LBB104_184
; %bb.183:
	v_mov_b32_e32 v2, 0
	global_store_short v2, v25, s[6:7]
.LBB104_184:
	s_or_b64 exec, exec, s[18:19]
                                        ; implicit-def: $vgpr10
.LBB104_185:
	s_or_saveexec_b64 s[14:15], s[14:15]
	s_mov_b64 s[18:19], s[4:5]
	s_xor_b64 exec, exec, s[14:15]
; %bb.186:
	s_or_b64 s[18:19], s[4:5], exec
; %bb.187:
	s_or_b64 exec, exec, s[14:15]
	s_andn2_b64 s[14:15], s[4:5], exec
	s_and_b64 s[18:19], s[18:19], exec
	s_or_b64 s[14:15], s[14:15], s[18:19]
                                        ; implicit-def: $vgpr20
                                        ; implicit-def: $vgpr13
                                        ; implicit-def: $vgpr16
.LBB104_188:
	s_or_saveexec_b64 s[16:17], s[16:17]
	s_mov_b64 s[18:19], s[8:9]
                                        ; implicit-def: $vgpr11
	s_xor_b64 exec, exec, s[16:17]
	s_cbranch_execz .LBB104_198
; %bb.189:
	v_cmp_lt_i64_e32 vcc, 12, v[0:1]
	s_mov_b64 s[20:21], s[8:9]
	s_mov_b64 s[22:23], s[14:15]
                                        ; implicit-def: $vgpr10
                                        ; implicit-def: $vgpr11
	s_and_saveexec_b64 s[18:19], vcc
	s_xor_b64 s[18:19], exec, s[18:19]
	s_cbranch_execz .LBB104_195
; %bb.190:
	v_cmp_lt_i64_e32 vcc, 13, v[0:1]
	s_mov_b64 s[20:21], s[14:15]
	s_and_saveexec_b64 s[22:23], vcc
	s_xor_b64 s[22:23], exec, s[22:23]
; %bb.191:
	s_or_b64 s[20:21], s[14:15], exec
                                        ; implicit-def: $vgpr13
; %bb.192:
	s_or_saveexec_b64 s[22:23], s[22:23]
	s_mov_b64 s[24:25], s[8:9]
	s_xor_b64 exec, exec, s[22:23]
; %bb.193:
	s_or_b64 s[24:25], s[8:9], exec
                                        ; implicit-def: $vgpr16
; %bb.194:
	s_or_b64 exec, exec, s[22:23]
	s_andn2_b64 s[22:23], s[14:15], exec
	s_and_b64 s[20:21], s[20:21], exec
	s_or_b64 s[22:23], s[22:23], s[20:21]
	s_andn2_b64 s[20:21], s[8:9], exec
	s_and_b64 s[24:25], s[24:25], exec
	s_or_b64 s[20:21], s[20:21], s[24:25]
	v_mov_b32_e32 v10, v16
	v_mov_b32_e32 v11, v13
                                        ; implicit-def: $vgpr20
.LBB104_195:
	s_andn2_saveexec_b64 s[18:19], s[18:19]
; %bb.196:
	s_or_b64 s[20:21], s[20:21], exec
                                        ; implicit-def: $vgpr10
	v_mov_b32_e32 v11, v20
; %bb.197:
	s_or_b64 exec, exec, s[18:19]
	s_andn2_b64 s[14:15], s[14:15], exec
	s_and_b64 s[18:19], s[22:23], exec
	s_or_b64 s[14:15], s[14:15], s[18:19]
	s_andn2_b64 s[18:19], s[8:9], exec
	s_and_b64 s[20:21], s[20:21], exec
	s_or_b64 s[18:19], s[18:19], s[20:21]
.LBB104_198:
	s_or_b64 exec, exec, s[16:17]
	s_andn2_b64 s[4:5], s[4:5], exec
	s_and_b64 s[14:15], s[14:15], exec
	s_or_b64 s[4:5], s[4:5], s[14:15]
	s_andn2_b64 s[8:9], s[8:9], exec
	s_and_b64 s[14:15], s[18:19], exec
	s_or_b64 s[8:9], s[8:9], s[14:15]
                                        ; implicit-def: $vgpr12
.LBB104_199:
	s_or_b64 exec, exec, s[12:13]
	s_and_b64 s[4:5], s[4:5], exec
	s_and_b64 s[8:9], s[8:9], exec
	;; [unrolled: 1-line block ×3, first 2 shown]
                                        ; implicit-def: $vgpr19
                                        ; implicit-def: $vgpr17
                                        ; implicit-def: $vgpr18
                                        ; implicit-def: $vgpr26
                                        ; implicit-def: $vgpr23
                                        ; implicit-def: $vgpr21
	s_andn2_saveexec_b64 s[2:3], s[2:3]
	s_cbranch_execz .LBB104_150
.LBB104_200:
	v_cmp_lt_i64_e32 vcc, 5, v[0:1]
	s_mov_b64 s[14:15], -1
	s_mov_b64 s[12:13], s[10:11]
	s_mov_b64 s[16:17], s[8:9]
	;; [unrolled: 1-line block ×3, first 2 shown]
                                        ; implicit-def: $vgpr10
                                        ; implicit-def: $vgpr11
                                        ; implicit-def: $vgpr12
	s_and_saveexec_b64 s[0:1], vcc
	s_cbranch_execz .LBB104_216
; %bb.201:
	v_cmp_lt_i64_e32 vcc, 8, v[0:1]
	s_mov_b64 s[12:13], s[10:11]
                                        ; implicit-def: $vgpr12
	s_and_saveexec_b64 s[14:15], vcc
	s_xor_b64 s[14:15], exec, s[14:15]
	s_cbranch_execz .LBB104_211
; %bb.202:
	v_cmp_lt_i64_e32 vcc, 9, v[0:1]
	s_and_saveexec_b64 s[12:13], vcc
	s_xor_b64 s[12:13], exec, s[12:13]
	s_cbranch_execz .LBB104_208
; %bb.203:
	v_cmp_lt_i64_e32 vcc, 10, v[0:1]
	s_and_saveexec_b64 s[16:17], vcc
	s_xor_b64 s[16:17], exec, s[16:17]
; %bb.204:
                                        ; implicit-def: $vgpr23
; %bb.205:
	s_andn2_saveexec_b64 s[16:17], s[16:17]
; %bb.206:
	v_mov_b32_e32 v21, v23
; %bb.207:
	s_or_b64 exec, exec, s[16:17]
                                        ; implicit-def: $vgpr26
.LBB104_208:
	s_andn2_saveexec_b64 s[12:13], s[12:13]
; %bb.209:
	v_mov_b32_e32 v21, v26
; %bb.210:
	s_or_b64 exec, exec, s[12:13]
	s_or_b64 s[12:13], s[10:11], exec
	v_mov_b32_e32 v12, v21
                                        ; implicit-def: $vgpr19
                                        ; implicit-def: $vgpr17
                                        ; implicit-def: $vgpr18
.LBB104_211:
	s_or_saveexec_b64 s[14:15], s[14:15]
	s_mov_b64 s[16:17], s[8:9]
	s_mov_b64 s[20:21], s[4:5]
                                        ; implicit-def: $vgpr10
                                        ; implicit-def: $vgpr11
	s_xor_b64 exec, exec, s[14:15]
	s_cbranch_execz .LBB104_215
; %bb.212:
	v_cmp_lt_i64_e32 vcc, 6, v[0:1]
	s_mov_b64 s[20:21], -1
	s_mov_b64 s[18:19], s[12:13]
	s_mov_b64 s[16:17], s[8:9]
	s_and_saveexec_b64 s[22:23], vcc
; %bb.213:
	v_cmp_lt_i64_e32 vcc, 7, v[0:1]
	s_andn2_b64 s[18:19], s[12:13], exec
	s_and_b64 s[24:25], vcc, exec
	s_xor_b64 s[20:21], exec, -1
	s_or_b64 s[16:17], s[8:9], exec
	s_or_b64 s[18:19], s[18:19], s[24:25]
                                        ; implicit-def: $vgpr19
; %bb.214:
	s_or_b64 exec, exec, s[22:23]
	s_andn2_b64 s[22:23], s[4:5], exec
	s_and_b64 s[20:21], s[20:21], exec
	s_or_b64 s[20:21], s[22:23], s[20:21]
	s_andn2_b64 s[22:23], s[8:9], exec
	s_and_b64 s[16:17], s[16:17], exec
	s_andn2_b64 s[12:13], s[12:13], exec
	s_and_b64 s[18:19], s[18:19], exec
	s_or_b64 s[16:17], s[22:23], s[16:17]
	s_or_b64 s[12:13], s[12:13], s[18:19]
	v_mov_b32_e32 v10, v19
	v_mov_b32_e32 v11, v17
	;; [unrolled: 1-line block ×3, first 2 shown]
.LBB104_215:
	s_or_b64 exec, exec, s[14:15]
	s_andn2_b64 s[18:19], s[4:5], exec
	s_and_b64 s[20:21], s[20:21], exec
	s_or_b64 s[18:19], s[18:19], s[20:21]
	s_andn2_b64 s[20:21], s[8:9], exec
	s_and_b64 s[16:17], s[16:17], exec
	s_or_b64 s[16:17], s[20:21], s[16:17]
	s_andn2_b64 s[20:21], s[10:11], exec
	s_and_b64 s[12:13], s[12:13], exec
	s_xor_b64 s[14:15], exec, -1
	s_or_b64 s[12:13], s[20:21], s[12:13]
.LBB104_216:
	s_or_b64 exec, exec, s[0:1]
	s_and_b64 s[0:1], s[14:15], exec
	s_andn2_b64 s[4:5], s[4:5], exec
	s_and_b64 s[14:15], s[18:19], exec
	s_or_b64 s[4:5], s[4:5], s[14:15]
	s_andn2_b64 s[8:9], s[8:9], exec
	s_and_b64 s[14:15], s[16:17], exec
	s_andn2_b64 s[10:11], s[10:11], exec
	s_and_b64 s[12:13], s[12:13], exec
	s_or_b64 s[8:9], s[8:9], s[14:15]
	s_or_b64 s[10:11], s[10:11], s[12:13]
	s_or_b64 exec, exec, s[2:3]
	s_and_saveexec_b64 s[2:3], s[10:11]
	s_cbranch_execz .LBB104_151
.LBB104_217:
	v_mov_b32_e32 v2, 0
	s_andn2_b64 s[8:9], s[8:9], exec
	global_store_short v2, v12, s[6:7]
                                        ; implicit-def: $vgpr10
                                        ; implicit-def: $vgpr11
	s_or_b64 exec, exec, s[2:3]
	s_and_saveexec_b64 s[2:3], s[8:9]
	s_cbranch_execz .LBB104_152
.LBB104_218:
	v_mov_b32_e32 v2, 0
	global_store_short v2, v11, s[6:7]
                                        ; implicit-def: $vgpr10
	s_or_b64 exec, exec, s[2:3]
	s_and_saveexec_b64 s[2:3], s[4:5]
	s_xor_b64 s[2:3], exec, s[2:3]
	s_cbranch_execz .LBB104_153
.LBB104_219:
	v_mov_b32_e32 v2, 0
	global_store_short v2, v10, s[6:7]
	s_or_b64 exec, exec, s[2:3]
	s_and_b64 exec, exec, s[0:1]
	s_cbranch_execz .LBB104_154
.LBB104_220:
	v_cmp_lt_i64_e32 vcc, 2, v[0:1]
	s_and_saveexec_b64 s[0:1], vcc
	s_xor_b64 s[0:1], exec, s[0:1]
	s_cbranch_execz .LBB104_230
; %bb.221:
	v_cmp_lt_i64_e32 vcc, 3, v[0:1]
	s_and_saveexec_b64 s[2:3], vcc
	s_xor_b64 s[2:3], exec, s[2:3]
	s_cbranch_execz .LBB104_227
; %bb.222:
	;; [unrolled: 5-line block ×3, first 2 shown]
	v_mov_b32_e32 v0, 0
	global_store_short v0, v9, s[6:7]
                                        ; implicit-def: $vgpr6
.LBB104_224:
	s_andn2_saveexec_b64 s[4:5], s[4:5]
	s_cbranch_execz .LBB104_226
; %bb.225:
	v_mov_b32_e32 v0, 0
	global_store_short v0, v6, s[6:7]
.LBB104_226:
	s_or_b64 exec, exec, s[4:5]
                                        ; implicit-def: $vgpr8
.LBB104_227:
	s_andn2_saveexec_b64 s[2:3], s[2:3]
	s_cbranch_execz .LBB104_229
; %bb.228:
	v_mov_b32_e32 v0, 0
	global_store_short v0, v8, s[6:7]
.LBB104_229:
	s_or_b64 exec, exec, s[2:3]
                                        ; implicit-def: $vgpr0_vgpr1
                                        ; implicit-def: $vgpr7
                                        ; implicit-def: $vgpr4
                                        ; implicit-def: $vgpr5
.LBB104_230:
	s_andn2_saveexec_b64 s[0:1], s[0:1]
	s_cbranch_execz .LBB104_154
; %bb.231:
	v_cmp_lt_i64_e32 vcc, 1, v[0:1]
	s_and_saveexec_b64 s[0:1], vcc
	s_xor_b64 s[0:1], exec, s[0:1]
	s_cbranch_execz .LBB104_233
; %bb.232:
	v_mov_b32_e32 v0, 0
	global_store_short v0, v7, s[6:7]
                                        ; implicit-def: $vgpr4
                                        ; implicit-def: $vgpr0_vgpr1
                                        ; implicit-def: $vgpr5
.LBB104_233:
	s_andn2_saveexec_b64 s[0:1], s[0:1]
	s_cbranch_execz .LBB104_154
; %bb.234:
	v_cmp_ne_u64_e32 vcc, 1, v[0:1]
	s_and_saveexec_b64 s[0:1], vcc
	s_xor_b64 s[0:1], exec, s[0:1]
	s_cbranch_execz .LBB104_236
; %bb.235:
	v_mov_b32_e32 v0, 0
	global_store_short v0, v5, s[6:7]
                                        ; implicit-def: $vgpr4
.LBB104_236:
	s_andn2_saveexec_b64 s[0:1], s[0:1]
	s_cbranch_execz .LBB104_154
; %bb.237:
	v_mov_b32_e32 v0, 0
	global_store_short v0, v4, s[6:7]
	s_endpgm
	.section	.rodata,"a",@progbits
	.p2align	6, 0x0
	.amdhsa_kernel _ZN7rocprim17ROCPRIM_304000_NS6detail20lookback_scan_kernelILNS1_25lookback_scan_determinismE0ELb0ENS1_19wrapped_scan_configINS0_14default_configEN3c104HalfEEEPKS7_PS7_St4plusIS7_ES7_S7_NS1_19lookback_scan_stateIS7_Lb0ELb1EEEEEvT2_T3_mT5_T4_T7_jPT6_SM_bb
		.amdhsa_group_segment_fixed_size 12288
		.amdhsa_private_segment_fixed_size 0
		.amdhsa_kernarg_size 68
		.amdhsa_user_sgpr_count 2
		.amdhsa_user_sgpr_dispatch_ptr 0
		.amdhsa_user_sgpr_queue_ptr 0
		.amdhsa_user_sgpr_kernarg_segment_ptr 1
		.amdhsa_user_sgpr_dispatch_id 0
		.amdhsa_user_sgpr_kernarg_preload_length 0
		.amdhsa_user_sgpr_kernarg_preload_offset 0
		.amdhsa_user_sgpr_private_segment_size 0
		.amdhsa_uses_dynamic_stack 0
		.amdhsa_enable_private_segment 0
		.amdhsa_system_sgpr_workgroup_id_x 1
		.amdhsa_system_sgpr_workgroup_id_y 0
		.amdhsa_system_sgpr_workgroup_id_z 0
		.amdhsa_system_sgpr_workgroup_info 0
		.amdhsa_system_vgpr_workitem_id 0
		.amdhsa_next_free_vgpr 55
		.amdhsa_next_free_sgpr 30
		.amdhsa_accum_offset 56
		.amdhsa_reserve_vcc 1
		.amdhsa_float_round_mode_32 0
		.amdhsa_float_round_mode_16_64 0
		.amdhsa_float_denorm_mode_32 3
		.amdhsa_float_denorm_mode_16_64 3
		.amdhsa_dx10_clamp 1
		.amdhsa_ieee_mode 1
		.amdhsa_fp16_overflow 0
		.amdhsa_tg_split 0
		.amdhsa_exception_fp_ieee_invalid_op 0
		.amdhsa_exception_fp_denorm_src 0
		.amdhsa_exception_fp_ieee_div_zero 0
		.amdhsa_exception_fp_ieee_overflow 0
		.amdhsa_exception_fp_ieee_underflow 0
		.amdhsa_exception_fp_ieee_inexact 0
		.amdhsa_exception_int_div_zero 0
	.end_amdhsa_kernel
	.section	.text._ZN7rocprim17ROCPRIM_304000_NS6detail20lookback_scan_kernelILNS1_25lookback_scan_determinismE0ELb0ENS1_19wrapped_scan_configINS0_14default_configEN3c104HalfEEEPKS7_PS7_St4plusIS7_ES7_S7_NS1_19lookback_scan_stateIS7_Lb0ELb1EEEEEvT2_T3_mT5_T4_T7_jPT6_SM_bb,"axG",@progbits,_ZN7rocprim17ROCPRIM_304000_NS6detail20lookback_scan_kernelILNS1_25lookback_scan_determinismE0ELb0ENS1_19wrapped_scan_configINS0_14default_configEN3c104HalfEEEPKS7_PS7_St4plusIS7_ES7_S7_NS1_19lookback_scan_stateIS7_Lb0ELb1EEEEEvT2_T3_mT5_T4_T7_jPT6_SM_bb,comdat
.Lfunc_end104:
	.size	_ZN7rocprim17ROCPRIM_304000_NS6detail20lookback_scan_kernelILNS1_25lookback_scan_determinismE0ELb0ENS1_19wrapped_scan_configINS0_14default_configEN3c104HalfEEEPKS7_PS7_St4plusIS7_ES7_S7_NS1_19lookback_scan_stateIS7_Lb0ELb1EEEEEvT2_T3_mT5_T4_T7_jPT6_SM_bb, .Lfunc_end104-_ZN7rocprim17ROCPRIM_304000_NS6detail20lookback_scan_kernelILNS1_25lookback_scan_determinismE0ELb0ENS1_19wrapped_scan_configINS0_14default_configEN3c104HalfEEEPKS7_PS7_St4plusIS7_ES7_S7_NS1_19lookback_scan_stateIS7_Lb0ELb1EEEEEvT2_T3_mT5_T4_T7_jPT6_SM_bb
                                        ; -- End function
	.section	.AMDGPU.csdata,"",@progbits
; Kernel info:
; codeLenInByte = 8836
; NumSgprs: 36
; NumVgprs: 55
; NumAgprs: 0
; TotalNumVgprs: 55
; ScratchSize: 0
; MemoryBound: 0
; FloatMode: 240
; IeeeMode: 1
; LDSByteSize: 12288 bytes/workgroup (compile time only)
; SGPRBlocks: 4
; VGPRBlocks: 6
; NumSGPRsForWavesPerEU: 36
; NumVGPRsForWavesPerEU: 55
; AccumOffset: 56
; Occupancy: 5
; WaveLimiterHint : 1
; COMPUTE_PGM_RSRC2:SCRATCH_EN: 0
; COMPUTE_PGM_RSRC2:USER_SGPR: 2
; COMPUTE_PGM_RSRC2:TRAP_HANDLER: 0
; COMPUTE_PGM_RSRC2:TGID_X_EN: 1
; COMPUTE_PGM_RSRC2:TGID_Y_EN: 0
; COMPUTE_PGM_RSRC2:TGID_Z_EN: 0
; COMPUTE_PGM_RSRC2:TIDIG_COMP_CNT: 0
; COMPUTE_PGM_RSRC3_GFX90A:ACCUM_OFFSET: 13
; COMPUTE_PGM_RSRC3_GFX90A:TG_SPLIT: 0
	.section	.text._ZN7rocprim17ROCPRIM_304000_NS6detail16transform_kernelINS1_24wrapped_transform_configINS0_14default_configEN3c104HalfEEES6_PS6_S8_NS0_8identityIS6_EEEEvT1_mT2_T3_,"axG",@progbits,_ZN7rocprim17ROCPRIM_304000_NS6detail16transform_kernelINS1_24wrapped_transform_configINS0_14default_configEN3c104HalfEEES6_PS6_S8_NS0_8identityIS6_EEEEvT1_mT2_T3_,comdat
	.protected	_ZN7rocprim17ROCPRIM_304000_NS6detail16transform_kernelINS1_24wrapped_transform_configINS0_14default_configEN3c104HalfEEES6_PS6_S8_NS0_8identityIS6_EEEEvT1_mT2_T3_ ; -- Begin function _ZN7rocprim17ROCPRIM_304000_NS6detail16transform_kernelINS1_24wrapped_transform_configINS0_14default_configEN3c104HalfEEES6_PS6_S8_NS0_8identityIS6_EEEEvT1_mT2_T3_
	.globl	_ZN7rocprim17ROCPRIM_304000_NS6detail16transform_kernelINS1_24wrapped_transform_configINS0_14default_configEN3c104HalfEEES6_PS6_S8_NS0_8identityIS6_EEEEvT1_mT2_T3_
	.p2align	8
	.type	_ZN7rocprim17ROCPRIM_304000_NS6detail16transform_kernelINS1_24wrapped_transform_configINS0_14default_configEN3c104HalfEEES6_PS6_S8_NS0_8identityIS6_EEEEvT1_mT2_T3_,@function
_ZN7rocprim17ROCPRIM_304000_NS6detail16transform_kernelINS1_24wrapped_transform_configINS0_14default_configEN3c104HalfEEES6_PS6_S8_NS0_8identityIS6_EEEEvT1_mT2_T3_: ; @_ZN7rocprim17ROCPRIM_304000_NS6detail16transform_kernelINS1_24wrapped_transform_configINS0_14default_configEN3c104HalfEEES6_PS6_S8_NS0_8identityIS6_EEEEvT1_mT2_T3_
; %bb.0:
	s_load_dword s3, s[0:1], 0x20
	s_load_dwordx4 s[4:7], s[0:1], 0x0
	s_load_dwordx2 s[12:13], s[0:1], 0x10
	s_lshl_b32 s0, s2, 11
	s_mov_b32 s1, 0
	s_waitcnt lgkmcnt(0)
	s_add_i32 s3, s3, -1
	s_lshl_b64 s[14:15], s[0:1], 1
	s_add_u32 s4, s4, s14
	s_addc_u32 s5, s5, s15
	v_mov_b32_e32 v3, 0
	v_lshlrev_b32_e32 v2, 1, v0
	s_cmp_lg_u32 s2, s3
	v_lshl_add_u64 v[4:5], s[4:5], 0, v[2:3]
	s_cbranch_scc0 .LBB105_2
; %bb.1:
	global_load_ushort v1, v[4:5], off
	global_load_ushort v3, v[4:5], off offset:512
	global_load_ushort v7, v[4:5], off offset:1024
	;; [unrolled: 1-line block ×7, first 2 shown]
	s_add_u32 s4, s12, s14
	s_addc_u32 s5, s13, s15
	s_mov_b64 s[16:17], -1
	s_waitcnt vmcnt(7)
	global_store_short v2, v1, s[4:5]
	s_waitcnt vmcnt(7)
	global_store_short v2, v3, s[4:5] offset:512
	s_waitcnt vmcnt(7)
	global_store_short v2, v7, s[4:5] offset:1024
	;; [unrolled: 2-line block ×6, first 2 shown]
	s_cbranch_execz .LBB105_3
	s_branch .LBB105_28
.LBB105_2:
	s_mov_b64 s[16:17], 0
                                        ; implicit-def: $vgpr6
.LBB105_3:
	s_sub_i32 s18, s6, s0
	v_cmp_gt_u32_e32 vcc, s18, v0
                                        ; implicit-def: $vgpr7
	s_and_saveexec_b64 s[0:1], vcc
	s_cbranch_execz .LBB105_5
; %bb.4:
	global_load_ushort v7, v[4:5], off
.LBB105_5:
	s_or_b64 exec, exec, s[0:1]
	v_or_b32_e32 v1, 0x100, v0
	v_cmp_gt_u32_e64 s[0:1], s18, v1
                                        ; implicit-def: $vgpr8
	s_and_saveexec_b64 s[2:3], s[0:1]
	s_cbranch_execz .LBB105_7
; %bb.6:
	global_load_ushort v8, v[4:5], off offset:512
.LBB105_7:
	s_or_b64 exec, exec, s[2:3]
	v_or_b32_e32 v1, 0x200, v0
	v_cmp_gt_u32_e64 s[2:3], s18, v1
                                        ; implicit-def: $vgpr9
	s_and_saveexec_b64 s[4:5], s[2:3]
	s_cbranch_execz .LBB105_9
; %bb.8:
	global_load_ushort v9, v[4:5], off offset:1024
.LBB105_9:
	s_or_b64 exec, exec, s[4:5]
	v_or_b32_e32 v1, 0x300, v0
	v_cmp_gt_u32_e64 s[4:5], s18, v1
                                        ; implicit-def: $vgpr10
	s_and_saveexec_b64 s[6:7], s[4:5]
	s_cbranch_execz .LBB105_11
; %bb.10:
	global_load_ushort v10, v[4:5], off offset:1536
.LBB105_11:
	s_or_b64 exec, exec, s[6:7]
	v_or_b32_e32 v1, 0x400, v0
	v_cmp_gt_u32_e64 s[6:7], s18, v1
                                        ; implicit-def: $vgpr11
	s_and_saveexec_b64 s[8:9], s[6:7]
	s_cbranch_execz .LBB105_13
; %bb.12:
	global_load_ushort v11, v[4:5], off offset:2048
.LBB105_13:
	s_or_b64 exec, exec, s[8:9]
	v_or_b32_e32 v1, 0x500, v0
	v_cmp_gt_u32_e64 s[8:9], s18, v1
                                        ; implicit-def: $vgpr12
	s_and_saveexec_b64 s[10:11], s[8:9]
	s_cbranch_execz .LBB105_15
; %bb.14:
	global_load_ushort v12, v[4:5], off offset:2560
.LBB105_15:
	s_or_b64 exec, exec, s[10:11]
	v_or_b32_e32 v1, 0x600, v0
	v_cmp_gt_u32_e64 s[10:11], s18, v1
                                        ; implicit-def: $vgpr13
	s_and_saveexec_b64 s[16:17], s[10:11]
	s_cbranch_execz .LBB105_17
; %bb.16:
	global_load_ushort v13, v[4:5], off offset:3072
.LBB105_17:
	s_or_b64 exec, exec, s[16:17]
	v_or_b32_e32 v0, 0x700, v0
	v_cmp_gt_u32_e64 s[16:17], s18, v0
                                        ; implicit-def: $vgpr6
	s_and_saveexec_b64 s[18:19], s[16:17]
	s_cbranch_execz .LBB105_19
; %bb.18:
	global_load_ushort v6, v[4:5], off offset:3584
.LBB105_19:
	s_or_b64 exec, exec, s[18:19]
	s_add_u32 s18, s12, s14
	s_addc_u32 s19, s13, s15
	v_mov_b32_e32 v3, 0
	v_lshl_add_u64 v[0:1], s[18:19], 0, v[2:3]
	s_and_saveexec_b64 s[18:19], vcc
	s_xor_b64 s[18:19], exec, s[18:19]
	s_cbranch_execnz .LBB105_31
; %bb.20:
	s_or_b64 exec, exec, s[18:19]
	s_and_saveexec_b64 s[18:19], s[0:1]
	s_cbranch_execnz .LBB105_32
.LBB105_21:
	s_or_b64 exec, exec, s[18:19]
	s_and_saveexec_b64 s[0:1], s[2:3]
	s_cbranch_execnz .LBB105_33
.LBB105_22:
	s_or_b64 exec, exec, s[0:1]
	s_and_saveexec_b64 s[0:1], s[4:5]
	s_cbranch_execnz .LBB105_34
.LBB105_23:
	s_or_b64 exec, exec, s[0:1]
	s_and_saveexec_b64 s[0:1], s[6:7]
	s_cbranch_execnz .LBB105_35
.LBB105_24:
	s_or_b64 exec, exec, s[0:1]
	s_and_saveexec_b64 s[0:1], s[8:9]
	s_cbranch_execnz .LBB105_36
.LBB105_25:
	s_or_b64 exec, exec, s[0:1]
	s_and_saveexec_b64 s[0:1], s[10:11]
	s_cbranch_execz .LBB105_27
.LBB105_26:
	s_waitcnt vmcnt(0)
	global_store_short v[0:1], v13, off offset:3072
.LBB105_27:
	s_or_b64 exec, exec, s[0:1]
.LBB105_28:
	s_and_saveexec_b64 s[0:1], s[16:17]
	s_cbranch_execnz .LBB105_30
; %bb.29:
	s_endpgm
.LBB105_30:
	s_add_u32 s0, s12, s14
	s_addc_u32 s1, s13, s15
	s_waitcnt vmcnt(0)
	global_store_short v2, v6, s[0:1] offset:3584
	s_endpgm
.LBB105_31:
	s_waitcnt vmcnt(0)
	global_store_short v[0:1], v7, off
	s_or_b64 exec, exec, s[18:19]
	s_and_saveexec_b64 s[18:19], s[0:1]
	s_cbranch_execz .LBB105_21
.LBB105_32:
	s_waitcnt vmcnt(0)
	global_store_short v[0:1], v8, off offset:512
	s_or_b64 exec, exec, s[18:19]
	s_and_saveexec_b64 s[0:1], s[2:3]
	s_cbranch_execz .LBB105_22
.LBB105_33:
	s_waitcnt vmcnt(0)
	global_store_short v[0:1], v9, off offset:1024
	s_or_b64 exec, exec, s[0:1]
	s_and_saveexec_b64 s[0:1], s[4:5]
	s_cbranch_execz .LBB105_23
.LBB105_34:
	s_waitcnt vmcnt(0)
	global_store_short v[0:1], v10, off offset:1536
	s_or_b64 exec, exec, s[0:1]
	s_and_saveexec_b64 s[0:1], s[6:7]
	s_cbranch_execz .LBB105_24
.LBB105_35:
	s_waitcnt vmcnt(0)
	global_store_short v[0:1], v11, off offset:2048
	s_or_b64 exec, exec, s[0:1]
	s_and_saveexec_b64 s[0:1], s[8:9]
	s_cbranch_execz .LBB105_25
.LBB105_36:
	s_waitcnt vmcnt(0)
	global_store_short v[0:1], v12, off offset:2560
	s_or_b64 exec, exec, s[0:1]
	s_and_saveexec_b64 s[0:1], s[10:11]
	s_cbranch_execnz .LBB105_26
	s_branch .LBB105_27
	.section	.rodata,"a",@progbits
	.p2align	6, 0x0
	.amdhsa_kernel _ZN7rocprim17ROCPRIM_304000_NS6detail16transform_kernelINS1_24wrapped_transform_configINS0_14default_configEN3c104HalfEEES6_PS6_S8_NS0_8identityIS6_EEEEvT1_mT2_T3_
		.amdhsa_group_segment_fixed_size 0
		.amdhsa_private_segment_fixed_size 0
		.amdhsa_kernarg_size 288
		.amdhsa_user_sgpr_count 2
		.amdhsa_user_sgpr_dispatch_ptr 0
		.amdhsa_user_sgpr_queue_ptr 0
		.amdhsa_user_sgpr_kernarg_segment_ptr 1
		.amdhsa_user_sgpr_dispatch_id 0
		.amdhsa_user_sgpr_kernarg_preload_length 0
		.amdhsa_user_sgpr_kernarg_preload_offset 0
		.amdhsa_user_sgpr_private_segment_size 0
		.amdhsa_uses_dynamic_stack 0
		.amdhsa_enable_private_segment 0
		.amdhsa_system_sgpr_workgroup_id_x 1
		.amdhsa_system_sgpr_workgroup_id_y 0
		.amdhsa_system_sgpr_workgroup_id_z 0
		.amdhsa_system_sgpr_workgroup_info 0
		.amdhsa_system_vgpr_workitem_id 0
		.amdhsa_next_free_vgpr 14
		.amdhsa_next_free_sgpr 20
		.amdhsa_accum_offset 16
		.amdhsa_reserve_vcc 1
		.amdhsa_float_round_mode_32 0
		.amdhsa_float_round_mode_16_64 0
		.amdhsa_float_denorm_mode_32 3
		.amdhsa_float_denorm_mode_16_64 3
		.amdhsa_dx10_clamp 1
		.amdhsa_ieee_mode 1
		.amdhsa_fp16_overflow 0
		.amdhsa_tg_split 0
		.amdhsa_exception_fp_ieee_invalid_op 0
		.amdhsa_exception_fp_denorm_src 0
		.amdhsa_exception_fp_ieee_div_zero 0
		.amdhsa_exception_fp_ieee_overflow 0
		.amdhsa_exception_fp_ieee_underflow 0
		.amdhsa_exception_fp_ieee_inexact 0
		.amdhsa_exception_int_div_zero 0
	.end_amdhsa_kernel
	.section	.text._ZN7rocprim17ROCPRIM_304000_NS6detail16transform_kernelINS1_24wrapped_transform_configINS0_14default_configEN3c104HalfEEES6_PS6_S8_NS0_8identityIS6_EEEEvT1_mT2_T3_,"axG",@progbits,_ZN7rocprim17ROCPRIM_304000_NS6detail16transform_kernelINS1_24wrapped_transform_configINS0_14default_configEN3c104HalfEEES6_PS6_S8_NS0_8identityIS6_EEEEvT1_mT2_T3_,comdat
.Lfunc_end105:
	.size	_ZN7rocprim17ROCPRIM_304000_NS6detail16transform_kernelINS1_24wrapped_transform_configINS0_14default_configEN3c104HalfEEES6_PS6_S8_NS0_8identityIS6_EEEEvT1_mT2_T3_, .Lfunc_end105-_ZN7rocprim17ROCPRIM_304000_NS6detail16transform_kernelINS1_24wrapped_transform_configINS0_14default_configEN3c104HalfEEES6_PS6_S8_NS0_8identityIS6_EEEEvT1_mT2_T3_
                                        ; -- End function
	.section	.AMDGPU.csdata,"",@progbits
; Kernel info:
; codeLenInByte = 832
; NumSgprs: 26
; NumVgprs: 14
; NumAgprs: 0
; TotalNumVgprs: 14
; ScratchSize: 0
; MemoryBound: 0
; FloatMode: 240
; IeeeMode: 1
; LDSByteSize: 0 bytes/workgroup (compile time only)
; SGPRBlocks: 3
; VGPRBlocks: 1
; NumSGPRsForWavesPerEU: 26
; NumVGPRsForWavesPerEU: 14
; AccumOffset: 16
; Occupancy: 8
; WaveLimiterHint : 1
; COMPUTE_PGM_RSRC2:SCRATCH_EN: 0
; COMPUTE_PGM_RSRC2:USER_SGPR: 2
; COMPUTE_PGM_RSRC2:TRAP_HANDLER: 0
; COMPUTE_PGM_RSRC2:TGID_X_EN: 1
; COMPUTE_PGM_RSRC2:TGID_Y_EN: 0
; COMPUTE_PGM_RSRC2:TGID_Z_EN: 0
; COMPUTE_PGM_RSRC2:TIDIG_COMP_CNT: 0
; COMPUTE_PGM_RSRC3_GFX90A:ACCUM_OFFSET: 3
; COMPUTE_PGM_RSRC3_GFX90A:TG_SPLIT: 0
	.section	.text._ZN7rocprim17ROCPRIM_304000_NS6detail18single_scan_kernelILb0ENS1_19wrapped_scan_configINS0_14default_configEN3c104HalfEEEPKS6_PS6_St4plusIS6_ES6_S6_EEvT1_mT4_T2_T3_,"axG",@progbits,_ZN7rocprim17ROCPRIM_304000_NS6detail18single_scan_kernelILb0ENS1_19wrapped_scan_configINS0_14default_configEN3c104HalfEEEPKS6_PS6_St4plusIS6_ES6_S6_EEvT1_mT4_T2_T3_,comdat
	.protected	_ZN7rocprim17ROCPRIM_304000_NS6detail18single_scan_kernelILb0ENS1_19wrapped_scan_configINS0_14default_configEN3c104HalfEEEPKS6_PS6_St4plusIS6_ES6_S6_EEvT1_mT4_T2_T3_ ; -- Begin function _ZN7rocprim17ROCPRIM_304000_NS6detail18single_scan_kernelILb0ENS1_19wrapped_scan_configINS0_14default_configEN3c104HalfEEEPKS6_PS6_St4plusIS6_ES6_S6_EEvT1_mT4_T2_T3_
	.globl	_ZN7rocprim17ROCPRIM_304000_NS6detail18single_scan_kernelILb0ENS1_19wrapped_scan_configINS0_14default_configEN3c104HalfEEEPKS6_PS6_St4plusIS6_ES6_S6_EEvT1_mT4_T2_T3_
	.p2align	8
	.type	_ZN7rocprim17ROCPRIM_304000_NS6detail18single_scan_kernelILb0ENS1_19wrapped_scan_configINS0_14default_configEN3c104HalfEEEPKS6_PS6_St4plusIS6_ES6_S6_EEvT1_mT4_T2_T3_,@function
_ZN7rocprim17ROCPRIM_304000_NS6detail18single_scan_kernelILb0ENS1_19wrapped_scan_configINS0_14default_configEN3c104HalfEEEPKS6_PS6_St4plusIS6_ES6_S6_EEvT1_mT4_T2_T3_: ; @_ZN7rocprim17ROCPRIM_304000_NS6detail18single_scan_kernelILb0ENS1_19wrapped_scan_configINS0_14default_configEN3c104HalfEEEPKS6_PS6_St4plusIS6_ES6_S6_EEvT1_mT4_T2_T3_
; %bb.0:
	s_load_dwordx4 s[48:51], s[0:1], 0x0
	v_mov_b32_e32 v15, 0
	v_lshlrev_b32_e32 v14, 1, v0
	s_waitcnt lgkmcnt(0)
	global_load_ushort v1, v15, s[48:49]
	v_lshl_add_u64 v[2:3], s[48:49], 0, v[14:15]
	v_cmp_gt_u32_e64 s[40:41], s50, v0
	s_waitcnt vmcnt(0)
	v_mov_b32_e32 v4, v1
	s_and_saveexec_b64 s[2:3], s[40:41]
	s_cbranch_execz .LBB106_2
; %bb.1:
	global_load_ushort v4, v[2:3], off
.LBB106_2:
	s_or_b64 exec, exec, s[2:3]
	v_or_b32_e32 v5, 0x100, v0
	v_cmp_gt_u32_e64 s[2:3], s50, v5
	v_mov_b32_e32 v5, v1
	s_and_saveexec_b64 s[4:5], s[2:3]
	s_cbranch_execz .LBB106_4
; %bb.3:
	global_load_ushort v5, v[2:3], off offset:512
.LBB106_4:
	s_or_b64 exec, exec, s[4:5]
	v_or_b32_e32 v6, 0x200, v0
	v_cmp_gt_u32_e64 s[4:5], s50, v6
	v_mov_b32_e32 v6, v1
	s_and_saveexec_b64 s[6:7], s[4:5]
	s_cbranch_execz .LBB106_6
; %bb.5:
	global_load_ushort v6, v[2:3], off offset:1024
.LBB106_6:
	;; [unrolled: 9-line block ×7, first 2 shown]
	s_or_b64 exec, exec, s[16:17]
	v_or_b32_e32 v12, 0x800, v0
	v_cmp_gt_u32_e64 s[16:17], s50, v12
	v_mov_b32_e32 v12, v1
	s_and_saveexec_b64 s[18:19], s[16:17]
	s_cbranch_execz .LBB106_18
; %bb.17:
	v_add_co_u32_e32 v12, vcc, 0x1000, v2
	s_nop 1
	v_addc_co_u32_e32 v13, vcc, 0, v3, vcc
	global_load_ushort v12, v[12:13], off
.LBB106_18:
	s_or_b64 exec, exec, s[18:19]
	v_or_b32_e32 v13, 0x900, v0
	v_cmp_gt_u32_e64 s[18:19], s50, v13
	v_mov_b32_e32 v13, v1
	s_and_saveexec_b64 s[20:21], s[18:19]
	s_cbranch_execz .LBB106_20
; %bb.19:
	v_add_co_u32_e32 v16, vcc, 0x1000, v2
	s_nop 1
	v_addc_co_u32_e32 v17, vcc, 0, v3, vcc
	global_load_ushort v13, v[16:17], off offset:512
.LBB106_20:
	s_or_b64 exec, exec, s[20:21]
	v_or_b32_e32 v15, 0xa00, v0
	v_cmp_gt_u32_e64 s[20:21], s50, v15
	v_mov_b32_e32 v15, v1
	s_and_saveexec_b64 s[22:23], s[20:21]
	s_cbranch_execz .LBB106_22
; %bb.21:
	v_add_co_u32_e32 v16, vcc, 0x1000, v2
	s_nop 1
	v_addc_co_u32_e32 v17, vcc, 0, v3, vcc
	global_load_ushort v15, v[16:17], off offset:1024
.LBB106_22:
	;; [unrolled: 12-line block ×7, first 2 shown]
	s_or_b64 exec, exec, s[34:35]
	v_or_b32_e32 v21, 0x1000, v0
	v_cmp_gt_u32_e64 s[34:35], s50, v21
	v_mov_b32_e32 v21, v1
	s_and_saveexec_b64 s[36:37], s[34:35]
	s_cbranch_execz .LBB106_34
; %bb.33:
	v_add_co_u32_e32 v22, vcc, 0x2000, v2
	s_nop 1
	v_addc_co_u32_e32 v23, vcc, 0, v3, vcc
	global_load_ushort v21, v[22:23], off
.LBB106_34:
	s_or_b64 exec, exec, s[36:37]
	v_or_b32_e32 v22, 0x1100, v0
	v_cmp_gt_u32_e64 s[36:37], s50, v22
	v_mov_b32_e32 v22, v1
	s_and_saveexec_b64 s[38:39], s[36:37]
	s_cbranch_execz .LBB106_36
; %bb.35:
	v_add_co_u32_e32 v22, vcc, 0x2000, v2
	s_nop 1
	v_addc_co_u32_e32 v23, vcc, 0, v3, vcc
	global_load_ushort v22, v[22:23], off offset:512
.LBB106_36:
	s_or_b64 exec, exec, s[38:39]
	v_or_b32_e32 v23, 0x1200, v0
	v_cmp_gt_u32_e64 s[38:39], s50, v23
	v_mov_b32_e32 v23, v1
	s_and_saveexec_b64 s[42:43], s[38:39]
	s_cbranch_execz .LBB106_38
; %bb.37:
	v_add_co_u32_e32 v24, vcc, 0x2000, v2
	s_nop 1
	v_addc_co_u32_e32 v25, vcc, 0, v3, vcc
	global_load_ushort v23, v[24:25], off offset:1024
.LBB106_38:
	;; [unrolled: 12-line block ×6, first 2 shown]
	s_or_b64 exec, exec, s[52:53]
	v_or_b32_e32 v28, 0x1700, v0
	v_cmp_gt_u32_e64 s[50:51], s50, v28
	s_and_saveexec_b64 s[52:53], s[50:51]
	s_cbranch_execz .LBB106_48
; %bb.47:
	v_add_co_u32_e32 v2, vcc, 0x2000, v2
	s_nop 1
	v_addc_co_u32_e32 v3, vcc, 0, v3, vcc
	global_load_ushort v1, v[2:3], off offset:3584
.LBB106_48:
	s_or_b64 exec, exec, s[52:53]
	s_waitcnt vmcnt(0)
	ds_write_b16 v14, v4
	ds_write_b16 v14, v5 offset:512
	ds_write_b16 v14, v6 offset:1024
	;; [unrolled: 1-line block ×23, first 2 shown]
	v_mad_u32_u24 v1, v0, 46, v14
	s_waitcnt lgkmcnt(0)
	s_barrier
	ds_read_b128 v[10:13], v1
	ds_read_b128 v[6:9], v1 offset:16
	ds_read_b128 v[2:5], v1 offset:32
	s_waitcnt lgkmcnt(0)
	s_barrier
	v_add_f16_sdwa v15, v10, v10 dst_sel:DWORD dst_unused:UNUSED_PAD src0_sel:DWORD src1_sel:WORD_1
	v_add_f16_e32 v15, v15, v11
	v_add_f16_sdwa v15, v15, v11 dst_sel:DWORD dst_unused:UNUSED_PAD src0_sel:DWORD src1_sel:WORD_1
	v_add_f16_e32 v15, v15, v12
	;; [unrolled: 2-line block ×11, first 2 shown]
	v_add_f16_sdwa v16, v15, v5 dst_sel:DWORD dst_unused:UNUSED_PAD src0_sel:DWORD src1_sel:WORD_1
	v_mbcnt_lo_u32_b32 v15, -1, 0
	v_mbcnt_hi_u32_b32 v15, -1, v15
	v_and_b32_e32 v17, 15, v15
	v_mov_b32_dpp v18, v16 row_shr:1 row_mask:0xf bank_mask:0xf
	v_add_f16_e32 v18, v16, v18
	v_cmp_eq_u32_e32 vcc, 0, v17
	s_nop 1
	v_cndmask_b32_e32 v16, v18, v16, vcc
	v_and_b32_e32 v18, 0xffff, v16
	v_cmp_lt_u32_e32 vcc, 1, v17
	s_nop 0
	v_mov_b32_dpp v18, v18 row_shr:2 row_mask:0xf bank_mask:0xf
	v_add_f16_e32 v18, v16, v18
	v_cndmask_b32_e32 v16, v16, v18, vcc
	v_and_b32_e32 v18, 0xffff, v16
	v_cmp_lt_u32_e32 vcc, 3, v17
	s_nop 0
	v_mov_b32_dpp v18, v18 row_shr:4 row_mask:0xf bank_mask:0xf
	v_add_f16_e32 v18, v16, v18
	;; [unrolled: 6-line block ×3, first 2 shown]
	v_cndmask_b32_e32 v16, v16, v18, vcc
	v_and_b32_e32 v17, 0xffff, v16
	v_and_b32_e32 v18, 16, v15
	v_cmp_eq_u32_e32 vcc, 0, v18
	v_mov_b32_dpp v17, v17 row_bcast:15 row_mask:0xf bank_mask:0xf
	v_add_f16_e32 v17, v16, v17
	v_cndmask_b32_e32 v16, v17, v16, vcc
	v_and_b32_e32 v17, 0xffff, v16
	v_cmp_lt_u32_e32 vcc, 31, v15
	v_or_b32_e32 v18, 63, v0
	v_mov_b32_dpp v17, v17 row_bcast:31 row_mask:0xf bank_mask:0xf
	v_add_f16_e32 v17, v16, v17
	v_cndmask_b32_e32 v16, v16, v17, vcc
	v_lshrrev_b32_e32 v17, 6, v0
	v_cmp_eq_u32_e32 vcc, v18, v0
	s_and_saveexec_b64 s[52:53], vcc
	s_cbranch_execz .LBB106_50
; %bb.49:
	v_lshlrev_b32_e32 v18, 1, v17
	ds_write_b16 v18, v16
.LBB106_50:
	s_or_b64 exec, exec, s[52:53]
	v_cmp_gt_u32_e32 vcc, 4, v0
	s_waitcnt lgkmcnt(0)
	s_barrier
	s_and_saveexec_b64 s[52:53], vcc
	s_cbranch_execz .LBB106_52
; %bb.51:
	ds_read_u16 v18, v14
	v_and_b32_e32 v19, 3, v15
	v_cmp_eq_u32_e32 vcc, 0, v19
	s_waitcnt lgkmcnt(0)
	v_and_b32_e32 v20, 0xffff, v18
	s_nop 1
	v_mov_b32_dpp v20, v20 row_shr:1 row_mask:0xf bank_mask:0xf
	v_add_f16_e32 v20, v18, v20
	v_cndmask_b32_e32 v18, v20, v18, vcc
	v_and_b32_e32 v20, 0xffff, v18
	v_cmp_lt_u32_e32 vcc, 1, v19
	s_nop 0
	v_mov_b32_dpp v20, v20 row_shr:2 row_mask:0xf bank_mask:0xf
	v_add_f16_e32 v20, v18, v20
	v_cndmask_b32_e32 v18, v18, v20, vcc
	ds_write_b16 v14, v18
.LBB106_52:
	s_or_b64 exec, exec, s[52:53]
	v_cmp_lt_u32_e32 vcc, 63, v0
	s_waitcnt lgkmcnt(0)
	s_barrier
	s_waitcnt lgkmcnt(0)
                                        ; implicit-def: $vgpr18
	s_and_saveexec_b64 s[52:53], vcc
	s_cbranch_execz .LBB106_54
; %bb.53:
	v_lshl_add_u32 v17, v17, 1, -2
	ds_read_u16 v18, v17
	s_waitcnt lgkmcnt(0)
	v_add_f16_e32 v16, v16, v18
.LBB106_54:
	s_or_b64 exec, exec, s[52:53]
	v_add_u32_e32 v17, -1, v15
	v_and_b32_e32 v19, 64, v15
	v_cmp_lt_i32_e32 vcc, v17, v19
	v_and_b32_e32 v16, 0xffff, v16
	s_mov_b32 s33, 0x5040100
	v_cndmask_b32_e32 v17, v17, v15, vcc
	v_lshlrev_b32_e32 v17, 2, v17
	ds_bpermute_b32 v16, v17, v16
	v_cmp_eq_u32_e32 vcc, 0, v15
	s_waitcnt lgkmcnt(0)
	s_barrier
	v_cndmask_b32_e32 v15, v16, v18, vcc
	v_add_f16_e32 v15, v10, v15
	v_cmp_eq_u32_e32 vcc, 0, v0
	s_load_dwordx2 s[0:1], s[0:1], 0x18
	s_nop 0
	v_cndmask_b32_e32 v15, v15, v10, vcc
	v_add_f16_sdwa v10, v10, v15 dst_sel:DWORD dst_unused:UNUSED_PAD src0_sel:WORD_1 src1_sel:DWORD
	v_add_f16_e32 v16, v11, v10
	v_add_f16_sdwa v11, v11, v16 dst_sel:DWORD dst_unused:UNUSED_PAD src0_sel:WORD_1 src1_sel:DWORD
	v_add_f16_e32 v17, v12, v11
	;; [unrolled: 2-line block ×11, first 2 shown]
	v_add_f16_sdwa v30, v5, v29 dst_sel:DWORD dst_unused:UNUSED_PAD src0_sel:WORD_1 src1_sel:DWORD
	v_perm_b32 v2, v10, v15, s33
	v_pack_b32_f16 v3, v16, v11
	v_pack_b32_f16 v4, v17, v12
	;; [unrolled: 1-line block ×3, first 2 shown]
	ds_write_b128 v1, v[2:5]
	v_pack_b32_f16 v2, v19, v6
	v_pack_b32_f16 v3, v20, v7
	v_pack_b32_f16 v4, v21, v8
	v_pack_b32_f16 v5, v22, v9
	s_movk_i32 s33, 0xffd2
	ds_write_b128 v1, v[2:5] offset:16
	v_pack_b32_f16 v2, v23, v24
	v_pack_b32_f16 v3, v25, v26
	;; [unrolled: 1-line block ×4, first 2 shown]
	v_mad_i32_i24 v0, v0, s33, v1
	ds_write_b128 v1, v[2:5] offset:32
	s_waitcnt lgkmcnt(0)
	s_barrier
	ds_read_u16 v25, v0 offset:512
	ds_read_u16 v24, v0 offset:1024
	;; [unrolled: 1-line block ×23, first 2 shown]
	v_mov_b32_e32 v15, 0
	v_lshl_add_u64 v[0:1], s[0:1], 0, v[14:15]
	s_and_saveexec_b64 s[0:1], s[40:41]
	s_cbranch_execnz .LBB106_79
; %bb.55:
	s_or_b64 exec, exec, s[0:1]
	s_and_saveexec_b64 s[0:1], s[2:3]
	s_cbranch_execnz .LBB106_80
.LBB106_56:
	s_or_b64 exec, exec, s[0:1]
	s_and_saveexec_b64 s[0:1], s[4:5]
	s_cbranch_execnz .LBB106_81
.LBB106_57:
	s_or_b64 exec, exec, s[0:1]
	s_and_saveexec_b64 s[0:1], s[6:7]
	s_cbranch_execnz .LBB106_82
.LBB106_58:
	s_or_b64 exec, exec, s[0:1]
	s_and_saveexec_b64 s[0:1], s[8:9]
	s_cbranch_execnz .LBB106_83
.LBB106_59:
	s_or_b64 exec, exec, s[0:1]
	s_and_saveexec_b64 s[0:1], s[10:11]
	s_cbranch_execnz .LBB106_84
.LBB106_60:
	s_or_b64 exec, exec, s[0:1]
	s_and_saveexec_b64 s[0:1], s[12:13]
	s_cbranch_execnz .LBB106_85
.LBB106_61:
	s_or_b64 exec, exec, s[0:1]
	s_and_saveexec_b64 s[0:1], s[14:15]
	s_cbranch_execnz .LBB106_86
.LBB106_62:
	s_or_b64 exec, exec, s[0:1]
	s_and_saveexec_b64 s[0:1], s[16:17]
	s_cbranch_execnz .LBB106_87
.LBB106_63:
	s_or_b64 exec, exec, s[0:1]
	s_and_saveexec_b64 s[0:1], s[18:19]
	s_cbranch_execnz .LBB106_88
.LBB106_64:
	s_or_b64 exec, exec, s[0:1]
	s_and_saveexec_b64 s[0:1], s[20:21]
	s_cbranch_execnz .LBB106_89
.LBB106_65:
	s_or_b64 exec, exec, s[0:1]
	s_and_saveexec_b64 s[0:1], s[22:23]
	s_cbranch_execnz .LBB106_90
.LBB106_66:
	s_or_b64 exec, exec, s[0:1]
	s_and_saveexec_b64 s[0:1], s[24:25]
	s_cbranch_execnz .LBB106_91
.LBB106_67:
	s_or_b64 exec, exec, s[0:1]
	s_and_saveexec_b64 s[0:1], s[26:27]
	s_cbranch_execnz .LBB106_92
.LBB106_68:
	s_or_b64 exec, exec, s[0:1]
	s_and_saveexec_b64 s[0:1], s[28:29]
	s_cbranch_execnz .LBB106_93
.LBB106_69:
	s_or_b64 exec, exec, s[0:1]
	s_and_saveexec_b64 s[0:1], s[30:31]
	s_cbranch_execnz .LBB106_94
.LBB106_70:
	s_or_b64 exec, exec, s[0:1]
	s_and_saveexec_b64 s[0:1], s[34:35]
	s_cbranch_execnz .LBB106_95
.LBB106_71:
	s_or_b64 exec, exec, s[0:1]
	s_and_saveexec_b64 s[0:1], s[36:37]
	s_cbranch_execnz .LBB106_96
.LBB106_72:
	s_or_b64 exec, exec, s[0:1]
	s_and_saveexec_b64 s[0:1], s[38:39]
	s_cbranch_execnz .LBB106_97
.LBB106_73:
	s_or_b64 exec, exec, s[0:1]
	s_and_saveexec_b64 s[0:1], s[42:43]
	s_cbranch_execnz .LBB106_98
.LBB106_74:
	s_or_b64 exec, exec, s[0:1]
	s_and_saveexec_b64 s[0:1], s[44:45]
	s_cbranch_execnz .LBB106_99
.LBB106_75:
	s_or_b64 exec, exec, s[0:1]
	s_and_saveexec_b64 s[0:1], s[46:47]
	s_cbranch_execnz .LBB106_100
.LBB106_76:
	s_or_b64 exec, exec, s[0:1]
	s_and_saveexec_b64 s[0:1], s[48:49]
	s_cbranch_execnz .LBB106_101
.LBB106_77:
	s_or_b64 exec, exec, s[0:1]
	s_and_saveexec_b64 s[0:1], s[50:51]
	s_cbranch_execnz .LBB106_102
.LBB106_78:
	s_endpgm
.LBB106_79:
	ds_read_u16 v14, v14
	s_waitcnt lgkmcnt(0)
	global_store_short v[0:1], v14, off
	s_or_b64 exec, exec, s[0:1]
	s_and_saveexec_b64 s[0:1], s[2:3]
	s_cbranch_execz .LBB106_56
.LBB106_80:
	s_waitcnt lgkmcnt(14)
	global_store_short v[0:1], v25, off offset:512
	s_or_b64 exec, exec, s[0:1]
	s_and_saveexec_b64 s[0:1], s[4:5]
	s_cbranch_execz .LBB106_57
.LBB106_81:
	s_waitcnt lgkmcnt(14)
	global_store_short v[0:1], v24, off offset:1024
	s_or_b64 exec, exec, s[0:1]
	s_and_saveexec_b64 s[0:1], s[6:7]
	s_cbranch_execz .LBB106_58
.LBB106_82:
	s_waitcnt lgkmcnt(14)
	global_store_short v[0:1], v23, off offset:1536
	s_or_b64 exec, exec, s[0:1]
	s_and_saveexec_b64 s[0:1], s[8:9]
	s_cbranch_execz .LBB106_59
.LBB106_83:
	s_waitcnt lgkmcnt(1)
	global_store_short v[0:1], v26, off offset:2048
	s_or_b64 exec, exec, s[0:1]
	s_and_saveexec_b64 s[0:1], s[10:11]
	s_cbranch_execz .LBB106_60
.LBB106_84:
	s_waitcnt lgkmcnt(14)
	global_store_short v[0:1], v22, off offset:2560
	s_or_b64 exec, exec, s[0:1]
	s_and_saveexec_b64 s[0:1], s[12:13]
	s_cbranch_execz .LBB106_61
.LBB106_85:
	s_waitcnt lgkmcnt(14)
	global_store_short v[0:1], v21, off offset:3072
	s_or_b64 exec, exec, s[0:1]
	s_and_saveexec_b64 s[0:1], s[14:15]
	s_cbranch_execz .LBB106_62
.LBB106_86:
	s_waitcnt lgkmcnt(14)
	global_store_short v[0:1], v20, off offset:3584
	s_or_b64 exec, exec, s[0:1]
	s_and_saveexec_b64 s[0:1], s[16:17]
	s_cbranch_execz .LBB106_63
.LBB106_87:
	v_add_co_u32_e32 v14, vcc, 0x1000, v0
	s_nop 1
	v_addc_co_u32_e32 v15, vcc, 0, v1, vcc
	s_waitcnt lgkmcnt(14)
	global_store_short v[14:15], v19, off
	s_or_b64 exec, exec, s[0:1]
	s_and_saveexec_b64 s[0:1], s[18:19]
	s_cbranch_execz .LBB106_64
.LBB106_88:
	v_add_co_u32_e32 v14, vcc, 0x1000, v0
	s_nop 1
	v_addc_co_u32_e32 v15, vcc, 0, v1, vcc
	s_waitcnt lgkmcnt(14)
	global_store_short v[14:15], v18, off offset:512
	s_or_b64 exec, exec, s[0:1]
	s_and_saveexec_b64 s[0:1], s[20:21]
	s_cbranch_execz .LBB106_65
.LBB106_89:
	v_add_co_u32_e32 v14, vcc, 0x1000, v0
	s_nop 1
	v_addc_co_u32_e32 v15, vcc, 0, v1, vcc
	s_waitcnt lgkmcnt(14)
	global_store_short v[14:15], v17, off offset:1024
	s_or_b64 exec, exec, s[0:1]
	s_and_saveexec_b64 s[0:1], s[22:23]
	s_cbranch_execz .LBB106_66
.LBB106_90:
	v_add_co_u32_e32 v14, vcc, 0x1000, v0
	s_nop 1
	v_addc_co_u32_e32 v15, vcc, 0, v1, vcc
	s_waitcnt lgkmcnt(10)
	global_store_short v[14:15], v16, off offset:1536
	s_or_b64 exec, exec, s[0:1]
	s_and_saveexec_b64 s[0:1], s[24:25]
	s_cbranch_execz .LBB106_67
.LBB106_91:
	v_add_co_u32_e32 v14, vcc, 0x1000, v0
	s_nop 1
	v_addc_co_u32_e32 v15, vcc, 0, v1, vcc
	s_waitcnt lgkmcnt(13)
	global_store_short v[14:15], v13, off offset:2048
	s_or_b64 exec, exec, s[0:1]
	s_and_saveexec_b64 s[0:1], s[26:27]
	s_cbranch_execz .LBB106_68
.LBB106_92:
	v_add_co_u32_e32 v14, vcc, 0x1000, v0
	s_nop 1
	v_addc_co_u32_e32 v15, vcc, 0, v1, vcc
	s_waitcnt lgkmcnt(9)
	global_store_short v[14:15], v12, off offset:2560
	s_or_b64 exec, exec, s[0:1]
	s_and_saveexec_b64 s[0:1], s[28:29]
	s_cbranch_execz .LBB106_69
.LBB106_93:
	s_waitcnt lgkmcnt(9)
	v_add_co_u32_e32 v12, vcc, 0x1000, v0
	s_nop 1
	v_addc_co_u32_e32 v13, vcc, 0, v1, vcc
	s_waitcnt lgkmcnt(8)
	global_store_short v[12:13], v11, off offset:3072
	s_or_b64 exec, exec, s[0:1]
	s_and_saveexec_b64 s[0:1], s[30:31]
	s_cbranch_execz .LBB106_70
.LBB106_94:
	s_waitcnt lgkmcnt(9)
	v_add_co_u32_e32 v12, vcc, 0x1000, v0
	s_nop 1
	v_addc_co_u32_e32 v13, vcc, 0, v1, vcc
	s_waitcnt lgkmcnt(7)
	global_store_short v[12:13], v10, off offset:3584
	s_or_b64 exec, exec, s[0:1]
	s_and_saveexec_b64 s[0:1], s[34:35]
	s_cbranch_execz .LBB106_71
.LBB106_95:
	s_waitcnt lgkmcnt(7)
	v_add_co_u32_e32 v10, vcc, 0x2000, v0
	s_nop 1
	v_addc_co_u32_e32 v11, vcc, 0, v1, vcc
	global_store_short v[10:11], v9, off
	s_or_b64 exec, exec, s[0:1]
	s_and_saveexec_b64 s[0:1], s[36:37]
	s_cbranch_execz .LBB106_72
.LBB106_96:
	s_waitcnt lgkmcnt(7)
	v_add_co_u32_e32 v10, vcc, 0x2000, v0
	s_nop 1
	v_addc_co_u32_e32 v11, vcc, 0, v1, vcc
	s_waitcnt lgkmcnt(6)
	global_store_short v[10:11], v8, off offset:512
	s_or_b64 exec, exec, s[0:1]
	s_and_saveexec_b64 s[0:1], s[38:39]
	s_cbranch_execz .LBB106_73
.LBB106_97:
	s_waitcnt lgkmcnt(6)
	v_add_co_u32_e32 v8, vcc, 0x2000, v0
	s_nop 1
	v_addc_co_u32_e32 v9, vcc, 0, v1, vcc
	s_waitcnt lgkmcnt(5)
	global_store_short v[8:9], v7, off offset:1024
	s_or_b64 exec, exec, s[0:1]
	s_and_saveexec_b64 s[0:1], s[42:43]
	s_cbranch_execz .LBB106_74
.LBB106_98:
	s_waitcnt lgkmcnt(6)
	v_add_co_u32_e32 v8, vcc, 0x2000, v0
	s_nop 1
	v_addc_co_u32_e32 v9, vcc, 0, v1, vcc
	s_waitcnt lgkmcnt(4)
	global_store_short v[8:9], v6, off offset:1536
	s_or_b64 exec, exec, s[0:1]
	s_and_saveexec_b64 s[0:1], s[44:45]
	s_cbranch_execz .LBB106_75
.LBB106_99:
	s_waitcnt lgkmcnt(4)
	v_add_co_u32_e32 v6, vcc, 0x2000, v0
	s_nop 1
	v_addc_co_u32_e32 v7, vcc, 0, v1, vcc
	global_store_short v[6:7], v5, off offset:2048
	s_or_b64 exec, exec, s[0:1]
	s_and_saveexec_b64 s[0:1], s[46:47]
	s_cbranch_execz .LBB106_76
.LBB106_100:
	s_waitcnt lgkmcnt(4)
	v_add_co_u32_e32 v6, vcc, 0x2000, v0
	s_nop 1
	v_addc_co_u32_e32 v7, vcc, 0, v1, vcc
	s_waitcnt lgkmcnt(3)
	global_store_short v[6:7], v4, off offset:2560
	s_or_b64 exec, exec, s[0:1]
	s_and_saveexec_b64 s[0:1], s[48:49]
	s_cbranch_execz .LBB106_77
.LBB106_101:
	s_waitcnt lgkmcnt(3)
	v_add_co_u32_e32 v4, vcc, 0x2000, v0
	s_nop 1
	v_addc_co_u32_e32 v5, vcc, 0, v1, vcc
	s_waitcnt lgkmcnt(2)
	global_store_short v[4:5], v3, off offset:3072
	s_or_b64 exec, exec, s[0:1]
	s_and_saveexec_b64 s[0:1], s[50:51]
	s_cbranch_execz .LBB106_78
.LBB106_102:
	v_add_co_u32_e32 v0, vcc, 0x2000, v0
	s_nop 1
	v_addc_co_u32_e32 v1, vcc, 0, v1, vcc
	s_waitcnt lgkmcnt(0)
	global_store_short v[0:1], v2, off offset:3584
	s_endpgm
	.section	.rodata,"a",@progbits
	.p2align	6, 0x0
	.amdhsa_kernel _ZN7rocprim17ROCPRIM_304000_NS6detail18single_scan_kernelILb0ENS1_19wrapped_scan_configINS0_14default_configEN3c104HalfEEEPKS6_PS6_St4plusIS6_ES6_S6_EEvT1_mT4_T2_T3_
		.amdhsa_group_segment_fixed_size 12288
		.amdhsa_private_segment_fixed_size 0
		.amdhsa_kernarg_size 36
		.amdhsa_user_sgpr_count 2
		.amdhsa_user_sgpr_dispatch_ptr 0
		.amdhsa_user_sgpr_queue_ptr 0
		.amdhsa_user_sgpr_kernarg_segment_ptr 1
		.amdhsa_user_sgpr_dispatch_id 0
		.amdhsa_user_sgpr_kernarg_preload_length 0
		.amdhsa_user_sgpr_kernarg_preload_offset 0
		.amdhsa_user_sgpr_private_segment_size 0
		.amdhsa_uses_dynamic_stack 0
		.amdhsa_enable_private_segment 0
		.amdhsa_system_sgpr_workgroup_id_x 1
		.amdhsa_system_sgpr_workgroup_id_y 0
		.amdhsa_system_sgpr_workgroup_id_z 0
		.amdhsa_system_sgpr_workgroup_info 0
		.amdhsa_system_vgpr_workitem_id 0
		.amdhsa_next_free_vgpr 31
		.amdhsa_next_free_sgpr 54
		.amdhsa_accum_offset 32
		.amdhsa_reserve_vcc 1
		.amdhsa_float_round_mode_32 0
		.amdhsa_float_round_mode_16_64 0
		.amdhsa_float_denorm_mode_32 3
		.amdhsa_float_denorm_mode_16_64 3
		.amdhsa_dx10_clamp 1
		.amdhsa_ieee_mode 1
		.amdhsa_fp16_overflow 0
		.amdhsa_tg_split 0
		.amdhsa_exception_fp_ieee_invalid_op 0
		.amdhsa_exception_fp_denorm_src 0
		.amdhsa_exception_fp_ieee_div_zero 0
		.amdhsa_exception_fp_ieee_overflow 0
		.amdhsa_exception_fp_ieee_underflow 0
		.amdhsa_exception_fp_ieee_inexact 0
		.amdhsa_exception_int_div_zero 0
	.end_amdhsa_kernel
	.section	.text._ZN7rocprim17ROCPRIM_304000_NS6detail18single_scan_kernelILb0ENS1_19wrapped_scan_configINS0_14default_configEN3c104HalfEEEPKS6_PS6_St4plusIS6_ES6_S6_EEvT1_mT4_T2_T3_,"axG",@progbits,_ZN7rocprim17ROCPRIM_304000_NS6detail18single_scan_kernelILb0ENS1_19wrapped_scan_configINS0_14default_configEN3c104HalfEEEPKS6_PS6_St4plusIS6_ES6_S6_EEvT1_mT4_T2_T3_,comdat
.Lfunc_end106:
	.size	_ZN7rocprim17ROCPRIM_304000_NS6detail18single_scan_kernelILb0ENS1_19wrapped_scan_configINS0_14default_configEN3c104HalfEEEPKS6_PS6_St4plusIS6_ES6_S6_EEvT1_mT4_T2_T3_, .Lfunc_end106-_ZN7rocprim17ROCPRIM_304000_NS6detail18single_scan_kernelILb0ENS1_19wrapped_scan_configINS0_14default_configEN3c104HalfEEEPKS6_PS6_St4plusIS6_ES6_S6_EEvT1_mT4_T2_T3_
                                        ; -- End function
	.section	.AMDGPU.csdata,"",@progbits
; Kernel info:
; codeLenInByte = 3736
; NumSgprs: 60
; NumVgprs: 31
; NumAgprs: 0
; TotalNumVgprs: 31
; ScratchSize: 0
; MemoryBound: 0
; FloatMode: 240
; IeeeMode: 1
; LDSByteSize: 12288 bytes/workgroup (compile time only)
; SGPRBlocks: 7
; VGPRBlocks: 3
; NumSGPRsForWavesPerEU: 60
; NumVGPRsForWavesPerEU: 31
; AccumOffset: 32
; Occupancy: 5
; WaveLimiterHint : 0
; COMPUTE_PGM_RSRC2:SCRATCH_EN: 0
; COMPUTE_PGM_RSRC2:USER_SGPR: 2
; COMPUTE_PGM_RSRC2:TRAP_HANDLER: 0
; COMPUTE_PGM_RSRC2:TGID_X_EN: 1
; COMPUTE_PGM_RSRC2:TGID_Y_EN: 0
; COMPUTE_PGM_RSRC2:TGID_Z_EN: 0
; COMPUTE_PGM_RSRC2:TIDIG_COMP_CNT: 0
; COMPUTE_PGM_RSRC3_GFX90A:ACCUM_OFFSET: 7
; COMPUTE_PGM_RSRC3_GFX90A:TG_SPLIT: 0
	.section	.text._ZN2at6native32tensor_kernel_scan_innermost_dimIN3c104HalfESt4plusIS3_EEEvPT_PKS6_jjjS6_T0_,"axG",@progbits,_ZN2at6native32tensor_kernel_scan_innermost_dimIN3c104HalfESt4plusIS3_EEEvPT_PKS6_jjjS6_T0_,comdat
	.protected	_ZN2at6native32tensor_kernel_scan_innermost_dimIN3c104HalfESt4plusIS3_EEEvPT_PKS6_jjjS6_T0_ ; -- Begin function _ZN2at6native32tensor_kernel_scan_innermost_dimIN3c104HalfESt4plusIS3_EEEvPT_PKS6_jjjS6_T0_
	.globl	_ZN2at6native32tensor_kernel_scan_innermost_dimIN3c104HalfESt4plusIS3_EEEvPT_PKS6_jjjS6_T0_
	.p2align	8
	.type	_ZN2at6native32tensor_kernel_scan_innermost_dimIN3c104HalfESt4plusIS3_EEEvPT_PKS6_jjjS6_T0_,@function
_ZN2at6native32tensor_kernel_scan_innermost_dimIN3c104HalfESt4plusIS3_EEEvPT_PKS6_jjjS6_T0_: ; @_ZN2at6native32tensor_kernel_scan_innermost_dimIN3c104HalfESt4plusIS3_EEEvPT_PKS6_jjjS6_T0_
; %bb.0:
	s_load_dwordx8 s[12:19], s[0:1], 0x0
	v_bfe_u32 v2, v0, 10, 10
	s_waitcnt lgkmcnt(0)
	s_lshl_b32 s3, 2, s18
	v_mul_lo_u32 v1, s3, v2
	s_mul_hi_u32 s4, s16, s17
	s_mov_b32 s20, s16
	v_lshl_add_u32 v18, v1, 1, 0
	s_cmp_lg_u32 s4, 0
	s_mov_b64 s[4:5], -1
	s_cbranch_scc1 .LBB107_26
; %bb.1:
	s_load_dword s6, s[0:1], 0x2c
	s_add_u32 s4, s0, 32
	s_addc_u32 s5, s1, 0
	s_waitcnt lgkmcnt(0)
	s_lshr_b32 s6, s6, 16
	s_mul_i32 s21, s2, s6
	s_cmp_ge_u32 s21, s16
	s_cbranch_scc1 .LBB107_25
; %bb.2:
	s_load_dword s27, s[4:5], 0x0
	s_lshl_b32 s26, 1, s18
	s_cmp_lg_u32 s17, 0
	v_and_b32_e32 v1, 0x3ff, v0
	s_cselect_b64 s[4:5], -1, 0
	v_lshl_add_u32 v3, v1, 1, v18
	v_add_u32_e32 v13, -2, v18
	v_cndmask_b32_e64 v4, 0, 1, s[4:5]
	v_lshl_add_u32 v12, s26, 1, v3
	v_cmp_eq_u32_e64 s[8:9], 0, v1
	v_lshl_add_u32 v14, s3, 1, v13
	s_waitcnt lgkmcnt(0)
	s_mul_i32 s27, s27, s6
	s_add_i32 s28, s18, 1
	v_cmp_ne_u32_e64 s[4:5], 1, v4
	v_mov_b32_e32 v5, 0
	s_branch .LBB107_4
.LBB107_3:                              ;   in Loop: Header=BB107_4 Depth=1
	s_add_i32 s21, s21, s27
	s_cmp_ge_u32 s21, s16
	s_cbranch_scc1 .LBB107_25
.LBB107_4:                              ; =>This Loop Header: Depth=1
                                        ;     Child Loop BB107_7 Depth 2
                                        ;       Child Loop BB107_16 Depth 3
	s_and_b64 vcc, exec, s[4:5]
	s_cbranch_vccnz .LBB107_3
; %bb.5:                                ;   in Loop: Header=BB107_4 Depth=1
	v_add_u32_e32 v10, s21, v2
	v_mul_lo_u32 v4, v10, s17
	v_lshlrev_b64 v[8:9], 1, v[4:5]
	v_lshl_add_u64 v[6:7], s[14:15], 0, v[8:9]
	v_lshl_add_u64 v[8:9], s[12:13], 0, v[8:9]
	v_cmp_gt_u32_e32 vcc, s16, v10
	v_cmp_le_u32_e64 s[6:7], s16, v10
	s_mov_b32 s29, 0
	v_mov_b32_e32 v15, s19
	s_branch .LBB107_7
.LBB107_6:                              ;   in Loop: Header=BB107_7 Depth=2
	s_or_b64 exec, exec, s[22:23]
	ds_read_u16 v15, v14
	s_add_i32 s29, s29, s3
	s_cmp_ge_u32 s29, s17
	s_waitcnt lgkmcnt(0)
	s_barrier
	s_cbranch_scc1 .LBB107_3
.LBB107_7:                              ;   Parent Loop BB107_4 Depth=1
                                        ; =>  This Loop Header: Depth=2
                                        ;       Child Loop BB107_16 Depth 3
	v_add_u32_e32 v4, s29, v1
	v_add_u32_e32 v10, s26, v4
	s_and_saveexec_b64 s[22:23], vcc
	s_cbranch_execz .LBB107_14
; %bb.8:                                ;   in Loop: Header=BB107_7 Depth=2
	v_cmp_gt_u32_e64 s[10:11], s17, v4
	v_mov_b32_e32 v11, s19
	s_and_saveexec_b64 s[24:25], s[10:11]
	s_cbranch_execz .LBB107_10
; %bb.9:                                ;   in Loop: Header=BB107_7 Depth=2
	v_lshl_add_u64 v[16:17], v[4:5], 1, v[6:7]
	global_load_ushort v11, v[16:17], off
.LBB107_10:                             ;   in Loop: Header=BB107_7 Depth=2
	s_or_b64 exec, exec, s[24:25]
	s_waitcnt vmcnt(0)
	ds_write_b16 v3, v11
	v_cmp_gt_u32_e64 s[10:11], s17, v10
	v_mov_b32_e32 v11, s19
	s_and_saveexec_b64 s[24:25], s[10:11]
	s_cbranch_execz .LBB107_12
; %bb.11:                               ;   in Loop: Header=BB107_7 Depth=2
	v_mov_b32_e32 v11, v5
	v_lshl_add_u64 v[16:17], v[10:11], 1, v[6:7]
	global_load_ushort v11, v[16:17], off
.LBB107_12:                             ;   in Loop: Header=BB107_7 Depth=2
	s_or_b64 exec, exec, s[24:25]
	s_waitcnt vmcnt(0)
	ds_write_b16 v12, v11
	s_and_b64 exec, exec, s[8:9]
	s_cbranch_execz .LBB107_14
; %bb.13:                               ;   in Loop: Header=BB107_7 Depth=2
	ds_read_u16 v11, v18
	s_waitcnt lgkmcnt(0)
	v_add_f16_e32 v11, v11, v15
	ds_write_b16 v18, v11
.LBB107_14:                             ;   in Loop: Header=BB107_7 Depth=2
	s_or_b64 exec, exec, s[22:23]
	s_mov_b64 s[22:23], 0
	v_mov_b32_e32 v11, 0
	s_waitcnt lgkmcnt(0)
	s_barrier
	s_branch .LBB107_16
.LBB107_15:                             ;   in Loop: Header=BB107_16 Depth=3
	s_or_b64 exec, exec, s[10:11]
	v_cmp_eq_u32_e64 s[10:11], s28, v11
	s_or_b64 s[22:23], s[10:11], s[22:23]
	s_waitcnt lgkmcnt(0)
	s_barrier
	s_andn2_b64 exec, exec, s[22:23]
	s_cbranch_execz .LBB107_20
.LBB107_16:                             ;   Parent Loop BB107_4 Depth=1
                                        ;     Parent Loop BB107_7 Depth=2
                                        ; =>    This Inner Loop Header: Depth=3
	v_add_u32_e32 v15, 1, v11
	s_and_saveexec_b64 s[10:11], s[6:7]
	s_xor_b64 s[10:11], exec, s[10:11]
; %bb.17:                               ;   in Loop: Header=BB107_16 Depth=3
	v_add_u32_e32 v11, 1, v11
                                        ; implicit-def: $vgpr15
; %bb.18:                               ;   in Loop: Header=BB107_16 Depth=3
	s_andn2_saveexec_b64 s[10:11], s[10:11]
	s_cbranch_execz .LBB107_15
; %bb.19:                               ;   in Loop: Header=BB107_16 Depth=3
	v_lshlrev_b32_e64 v16, v11, 1
	v_lshrrev_b32_e32 v17, v11, v1
	v_bfm_b32 v11, v11, 0
	v_lshl_or_b32 v16, v17, v15, v16
	v_and_b32_e32 v11, v11, v1
	v_lshlrev_b32_e32 v16, 1, v16
	v_lshlrev_b32_e32 v11, 1, v11
	v_add3_u32 v11, v18, v16, v11
	v_add_u32_e32 v16, v13, v16
	ds_read_u16 v17, v11
	ds_read_u16 v16, v16
	s_waitcnt lgkmcnt(0)
	v_add_f16_e32 v16, v17, v16
	ds_write_b16 v11, v16
	v_mov_b32_e32 v11, v15
	s_branch .LBB107_15
.LBB107_20:                             ;   in Loop: Header=BB107_7 Depth=2
	s_or_b64 exec, exec, s[22:23]
	s_and_saveexec_b64 s[22:23], vcc
	s_cbranch_execz .LBB107_6
; %bb.21:                               ;   in Loop: Header=BB107_7 Depth=2
	v_cmp_gt_u32_e64 s[10:11], s17, v4
	s_and_saveexec_b64 s[24:25], s[10:11]
	s_cbranch_execz .LBB107_23
; %bb.22:                               ;   in Loop: Header=BB107_7 Depth=2
	ds_read_u16 v11, v3
	v_lshl_add_u64 v[16:17], v[4:5], 1, v[8:9]
	s_waitcnt lgkmcnt(0)
	global_store_short v[16:17], v11, off
.LBB107_23:                             ;   in Loop: Header=BB107_7 Depth=2
	s_or_b64 exec, exec, s[24:25]
	v_cmp_gt_u32_e64 s[10:11], s17, v10
	s_and_b64 exec, exec, s[10:11]
	s_cbranch_execz .LBB107_6
; %bb.24:                               ;   in Loop: Header=BB107_7 Depth=2
	ds_read_u16 v4, v12
	v_mov_b32_e32 v11, v5
	v_lshl_add_u64 v[10:11], v[10:11], 1, v[8:9]
	s_waitcnt lgkmcnt(0)
	global_store_short v[10:11], v4, off
	s_branch .LBB107_6
.LBB107_25:
	s_mov_b64 s[4:5], 0
.LBB107_26:
	s_andn2_b64 vcc, exec, s[4:5]
	s_cbranch_vccnz .LBB107_53
; %bb.27:
	s_load_dword s3, s[0:1], 0x2c
	s_add_u32 s4, s0, 32
	s_mov_b32 s21, 0
	s_addc_u32 s5, s1, 0
	v_mov_b64_e32 v[4:5], s[20:21]
	s_waitcnt lgkmcnt(0)
	s_lshr_b32 s0, s3, 16
	s_mul_hi_u32 s9, s0, s2
	s_mul_i32 s8, s0, s2
	v_cmp_ge_u64_e32 vcc, s[8:9], v[4:5]
	s_cbranch_vccnz .LBB107_53
; %bb.28:
	s_lshl_b32 s10, 1, s18
	s_load_dword s4, s[4:5], 0x0
	s_and_b32 s6, 0xffff, s0
	s_ashr_i32 s11, s10, 31
	s_cmp_lg_u32 s17, 0
	s_mov_b32 s22, s17
	v_and_b32_e32 v0, 0x3ff, v0
	s_cselect_b64 s[2:3], -1, 0
	s_lshl_b64 s[16:17], s[10:11], 1
	v_mov_b32_e32 v3, 0
	v_lshl_add_u32 v19, v0, 1, v18
	s_lshl_b32 s5, s16, 1
	v_cndmask_b32_e64 v4, 0, 1, s[2:3]
	s_mov_b32 s23, s21
	v_mov_b32_e32 v1, v3
	v_lshl_add_u32 v20, s10, 1, v19
	v_cmp_eq_u32_e64 s[0:1], 0, v0
	v_add3_u32 v21, v18, s5, -2
	s_waitcnt lgkmcnt(0)
	s_mul_i32 s33, s4, s6
	s_add_i32 s18, s18, 1
	v_cmp_ne_u32_e64 s[2:3], 1, v4
	v_mov_b64_e32 v[4:5], s[20:21]
	s_branch .LBB107_30
.LBB107_29:                             ;   in Loop: Header=BB107_30 Depth=1
	s_add_u32 s8, s8, s33
	s_addc_u32 s9, s9, 0
	v_cmp_ge_u64_e32 vcc, s[8:9], v[4:5]
	s_cbranch_vccnz .LBB107_53
.LBB107_30:                             ; =>This Loop Header: Depth=1
                                        ;     Child Loop BB107_33 Depth 2
                                        ;       Child Loop BB107_43 Depth 3
	s_and_b64 vcc, exec, s[2:3]
	s_cbranch_vccnz .LBB107_29
; %bb.31:                               ;   in Loop: Header=BB107_30 Depth=1
	v_lshl_add_u64 v[10:11], s[8:9], 0, v[2:3]
	v_mad_u64_u32 v[6:7], s[4:5], v10, s22, 0
	v_mov_b32_e32 v8, v7
	v_mad_u64_u32 v[8:9], s[4:5], v11, s22, v[8:9]
	v_mov_b32_e32 v7, v8
	v_lshlrev_b64 v[8:9], 1, v[6:7]
	v_lshl_add_u64 v[6:7], s[14:15], 0, v[8:9]
	v_lshl_add_u64 v[8:9], s[12:13], 0, v[8:9]
	v_cmp_gt_u64_e64 s[4:5], s[20:21], v[10:11]
	v_cmp_le_u64_e64 s[6:7], s[20:21], v[10:11]
	s_mov_b64 s[24:25], 0
	v_mov_b32_e32 v14, s19
	s_branch .LBB107_33
.LBB107_32:                             ;   in Loop: Header=BB107_33 Depth=2
	s_or_b64 exec, exec, s[26:27]
	ds_read_u16 v14, v21
	s_add_u32 s24, s24, s16
	s_addc_u32 s25, s25, s17
	v_mov_b64_e32 v[10:11], s[22:23]
	v_cmp_ge_u64_e32 vcc, s[24:25], v[10:11]
	s_waitcnt lgkmcnt(0)
	s_barrier
	s_cbranch_vccnz .LBB107_29
.LBB107_33:                             ;   Parent Loop BB107_30 Depth=1
                                        ; =>  This Loop Header: Depth=2
                                        ;       Child Loop BB107_43 Depth 3
	v_lshl_add_u64 v[12:13], s[24:25], 0, v[0:1]
	v_lshl_add_u64 v[10:11], v[12:13], 0, s[10:11]
	s_and_saveexec_b64 s[26:27], s[4:5]
	s_cbranch_execz .LBB107_40
; %bb.34:                               ;   in Loop: Header=BB107_33 Depth=2
	v_cmp_gt_u64_e32 vcc, s[22:23], v[12:13]
	v_mov_b32_e32 v15, s19
	s_and_saveexec_b64 s[28:29], vcc
	s_cbranch_execz .LBB107_36
; %bb.35:                               ;   in Loop: Header=BB107_33 Depth=2
	v_lshl_add_u64 v[16:17], v[12:13], 1, v[6:7]
	global_load_ushort v15, v[16:17], off
.LBB107_36:                             ;   in Loop: Header=BB107_33 Depth=2
	s_or_b64 exec, exec, s[28:29]
	s_waitcnt vmcnt(0)
	ds_write_b16 v19, v15
	v_cmp_gt_u64_e32 vcc, s[22:23], v[10:11]
	v_mov_b32_e32 v15, s19
	s_and_saveexec_b64 s[28:29], vcc
	s_cbranch_execz .LBB107_38
; %bb.37:                               ;   in Loop: Header=BB107_33 Depth=2
	v_lshl_add_u64 v[16:17], v[10:11], 1, v[6:7]
	global_load_ushort v15, v[16:17], off
.LBB107_38:                             ;   in Loop: Header=BB107_33 Depth=2
	s_or_b64 exec, exec, s[28:29]
	s_waitcnt vmcnt(0)
	ds_write_b16 v20, v15
	s_and_b64 exec, exec, s[0:1]
	s_cbranch_execz .LBB107_40
; %bb.39:                               ;   in Loop: Header=BB107_33 Depth=2
	ds_read_u16 v15, v18
	s_waitcnt lgkmcnt(0)
	v_add_f16_e32 v14, v15, v14
	ds_write_b16 v18, v14
.LBB107_40:                             ;   in Loop: Header=BB107_33 Depth=2
	s_or_b64 exec, exec, s[26:27]
	s_mov_b64 s[26:27], 0
	v_mov_b32_e32 v23, 0
	s_waitcnt lgkmcnt(0)
	s_barrier
	s_branch .LBB107_43
.LBB107_41:                             ;   in Loop: Header=BB107_43 Depth=3
	s_or_b64 exec, exec, s[30:31]
	v_lshrrev_b32_e32 v15, v23, v0
	v_lshl_or_b32 v14, v15, v22, v14
	v_lshl_add_u32 v14, v14, 1, v18
	v_lshl_add_u32 v15, v16, 1, v14
	v_add_u32_e32 v14, -2, v14
	ds_read_u16 v16, v15
	ds_read_u16 v14, v14
	s_waitcnt lgkmcnt(0)
	v_add_f16_e32 v14, v16, v14
	ds_write_b16 v15, v14
.LBB107_42:                             ;   in Loop: Header=BB107_43 Depth=3
	s_or_b64 exec, exec, s[28:29]
	v_cmp_eq_u32_e32 vcc, s18, v22
	s_or_b64 s[26:27], vcc, s[26:27]
	v_mov_b32_e32 v23, v22
	s_waitcnt lgkmcnt(0)
	s_barrier
	s_andn2_b64 exec, exec, s[26:27]
	s_cbranch_execz .LBB107_48
.LBB107_43:                             ;   Parent Loop BB107_30 Depth=1
                                        ;     Parent Loop BB107_33 Depth=2
                                        ; =>    This Inner Loop Header: Depth=3
	v_add_u32_e32 v22, 1, v23
	s_and_saveexec_b64 s[28:29], s[6:7]
	s_xor_b64 s[28:29], exec, s[28:29]
; %bb.44:                               ;   in Loop: Header=BB107_43 Depth=3
	v_add_u32_e32 v22, 1, v23
                                        ; implicit-def: $vgpr23
; %bb.45:                               ;   in Loop: Header=BB107_43 Depth=3
	s_andn2_saveexec_b64 s[28:29], s[28:29]
	s_cbranch_execz .LBB107_42
; %bb.46:                               ;   in Loop: Header=BB107_43 Depth=3
	v_lshlrev_b32_e64 v14, v23, 1
	v_ashrrev_i32_e32 v15, 31, v14
	v_cmp_ge_u64_e32 vcc, v[0:1], v[14:15]
	v_mov_b64_e32 v[16:17], v[0:1]
	s_and_saveexec_b64 s[30:31], vcc
	s_cbranch_execz .LBB107_41
; %bb.47:                               ;   in Loop: Header=BB107_43 Depth=3
	v_cvt_f32_u32_e32 v15, v14
	v_sub_u32_e32 v16, 0, v14
	v_rcp_iflag_f32_e32 v15, v15
	s_nop 0
	v_mul_f32_e32 v15, 0x4f7ffffe, v15
	v_cvt_u32_f32_e32 v15, v15
	v_mul_lo_u32 v16, v16, v15
	v_mul_hi_u32 v16, v15, v16
	v_add_u32_e32 v15, v15, v16
	v_mul_hi_u32 v15, v0, v15
	v_mul_lo_u32 v15, v15, v14
	v_sub_u32_e32 v15, v0, v15
	v_sub_u32_e32 v16, v15, v14
	v_cmp_ge_u32_e32 vcc, v15, v14
	s_nop 1
	v_cndmask_b32_e32 v15, v15, v16, vcc
	v_sub_u32_e32 v16, v15, v14
	v_cmp_ge_u32_e32 vcc, v15, v14
	s_nop 1
	v_cndmask_b32_e32 v16, v15, v16, vcc
	s_branch .LBB107_41
.LBB107_48:                             ;   in Loop: Header=BB107_33 Depth=2
	s_or_b64 exec, exec, s[26:27]
	s_and_saveexec_b64 s[26:27], s[4:5]
	s_cbranch_execz .LBB107_32
; %bb.49:                               ;   in Loop: Header=BB107_33 Depth=2
	v_cmp_gt_u64_e32 vcc, s[22:23], v[12:13]
	s_and_saveexec_b64 s[28:29], vcc
	s_cbranch_execz .LBB107_51
; %bb.50:                               ;   in Loop: Header=BB107_33 Depth=2
	ds_read_u16 v14, v19
	v_lshl_add_u64 v[12:13], v[12:13], 1, v[8:9]
	s_waitcnt lgkmcnt(0)
	global_store_short v[12:13], v14, off
.LBB107_51:                             ;   in Loop: Header=BB107_33 Depth=2
	s_or_b64 exec, exec, s[28:29]
	v_cmp_gt_u64_e32 vcc, s[22:23], v[10:11]
	s_and_b64 exec, exec, vcc
	s_cbranch_execz .LBB107_32
; %bb.52:                               ;   in Loop: Header=BB107_33 Depth=2
	ds_read_u16 v12, v20
	v_lshl_add_u64 v[10:11], v[10:11], 1, v[8:9]
	s_waitcnt lgkmcnt(0)
	global_store_short v[10:11], v12, off
	s_branch .LBB107_32
.LBB107_53:
	s_endpgm
	.section	.rodata,"a",@progbits
	.p2align	6, 0x0
	.amdhsa_kernel _ZN2at6native32tensor_kernel_scan_innermost_dimIN3c104HalfESt4plusIS3_EEEvPT_PKS6_jjjS6_T0_
		.amdhsa_group_segment_fixed_size 0
		.amdhsa_private_segment_fixed_size 0
		.amdhsa_kernarg_size 288
		.amdhsa_user_sgpr_count 2
		.amdhsa_user_sgpr_dispatch_ptr 0
		.amdhsa_user_sgpr_queue_ptr 0
		.amdhsa_user_sgpr_kernarg_segment_ptr 1
		.amdhsa_user_sgpr_dispatch_id 0
		.amdhsa_user_sgpr_kernarg_preload_length 0
		.amdhsa_user_sgpr_kernarg_preload_offset 0
		.amdhsa_user_sgpr_private_segment_size 0
		.amdhsa_uses_dynamic_stack 0
		.amdhsa_enable_private_segment 0
		.amdhsa_system_sgpr_workgroup_id_x 1
		.amdhsa_system_sgpr_workgroup_id_y 0
		.amdhsa_system_sgpr_workgroup_id_z 0
		.amdhsa_system_sgpr_workgroup_info 0
		.amdhsa_system_vgpr_workitem_id 1
		.amdhsa_next_free_vgpr 24
		.amdhsa_next_free_sgpr 34
		.amdhsa_accum_offset 24
		.amdhsa_reserve_vcc 1
		.amdhsa_float_round_mode_32 0
		.amdhsa_float_round_mode_16_64 0
		.amdhsa_float_denorm_mode_32 3
		.amdhsa_float_denorm_mode_16_64 3
		.amdhsa_dx10_clamp 1
		.amdhsa_ieee_mode 1
		.amdhsa_fp16_overflow 0
		.amdhsa_tg_split 0
		.amdhsa_exception_fp_ieee_invalid_op 0
		.amdhsa_exception_fp_denorm_src 0
		.amdhsa_exception_fp_ieee_div_zero 0
		.amdhsa_exception_fp_ieee_overflow 0
		.amdhsa_exception_fp_ieee_underflow 0
		.amdhsa_exception_fp_ieee_inexact 0
		.amdhsa_exception_int_div_zero 0
	.end_amdhsa_kernel
	.section	.text._ZN2at6native32tensor_kernel_scan_innermost_dimIN3c104HalfESt4plusIS3_EEEvPT_PKS6_jjjS6_T0_,"axG",@progbits,_ZN2at6native32tensor_kernel_scan_innermost_dimIN3c104HalfESt4plusIS3_EEEvPT_PKS6_jjjS6_T0_,comdat
.Lfunc_end107:
	.size	_ZN2at6native32tensor_kernel_scan_innermost_dimIN3c104HalfESt4plusIS3_EEEvPT_PKS6_jjjS6_T0_, .Lfunc_end107-_ZN2at6native32tensor_kernel_scan_innermost_dimIN3c104HalfESt4plusIS3_EEEvPT_PKS6_jjjS6_T0_
                                        ; -- End function
	.section	.AMDGPU.csdata,"",@progbits
; Kernel info:
; codeLenInByte = 1624
; NumSgprs: 40
; NumVgprs: 24
; NumAgprs: 0
; TotalNumVgprs: 24
; ScratchSize: 0
; MemoryBound: 0
; FloatMode: 240
; IeeeMode: 1
; LDSByteSize: 0 bytes/workgroup (compile time only)
; SGPRBlocks: 4
; VGPRBlocks: 2
; NumSGPRsForWavesPerEU: 40
; NumVGPRsForWavesPerEU: 24
; AccumOffset: 24
; Occupancy: 8
; WaveLimiterHint : 0
; COMPUTE_PGM_RSRC2:SCRATCH_EN: 0
; COMPUTE_PGM_RSRC2:USER_SGPR: 2
; COMPUTE_PGM_RSRC2:TRAP_HANDLER: 0
; COMPUTE_PGM_RSRC2:TGID_X_EN: 1
; COMPUTE_PGM_RSRC2:TGID_Y_EN: 0
; COMPUTE_PGM_RSRC2:TGID_Z_EN: 0
; COMPUTE_PGM_RSRC2:TIDIG_COMP_CNT: 1
; COMPUTE_PGM_RSRC3_GFX90A:ACCUM_OFFSET: 5
; COMPUTE_PGM_RSRC3_GFX90A:TG_SPLIT: 0
	.section	.text._ZN2at6native28tensor_kernel_scan_outer_dimIN3c104HalfEjSt4plusIS3_EEEvPT_PKS6_jjjS6_T1_,"axG",@progbits,_ZN2at6native28tensor_kernel_scan_outer_dimIN3c104HalfEjSt4plusIS3_EEEvPT_PKS6_jjjS6_T1_,comdat
	.protected	_ZN2at6native28tensor_kernel_scan_outer_dimIN3c104HalfEjSt4plusIS3_EEEvPT_PKS6_jjjS6_T1_ ; -- Begin function _ZN2at6native28tensor_kernel_scan_outer_dimIN3c104HalfEjSt4plusIS3_EEEvPT_PKS6_jjjS6_T1_
	.globl	_ZN2at6native28tensor_kernel_scan_outer_dimIN3c104HalfEjSt4plusIS3_EEEvPT_PKS6_jjjS6_T1_
	.p2align	8
	.type	_ZN2at6native28tensor_kernel_scan_outer_dimIN3c104HalfEjSt4plusIS3_EEEvPT_PKS6_jjjS6_T1_,@function
_ZN2at6native28tensor_kernel_scan_outer_dimIN3c104HalfEjSt4plusIS3_EEEvPT_PKS6_jjjS6_T1_: ; @_ZN2at6native28tensor_kernel_scan_outer_dimIN3c104HalfEjSt4plusIS3_EEEvPT_PKS6_jjjS6_T1_
; %bb.0:
	s_load_dwordx4 s[8:11], s[0:1], 0x10
	s_waitcnt lgkmcnt(0)
	s_cmp_ge_u32 s2, s8
	s_cbranch_scc1 .LBB108_9
; %bb.1:
	s_load_dword s4, s[0:1], 0x2c
	s_load_dwordx4 s[12:15], s[0:1], 0x0
	s_load_dword s26, s[0:1], 0x20
	s_add_u32 s6, s0, 32
	s_addc_u32 s7, s1, 0
	s_waitcnt lgkmcnt(0)
	s_and_b32 s27, s4, 0xffff
	s_mul_i32 s3, s3, s27
	s_cmp_lg_u32 s10, 0
	v_add_u32_e32 v4, s3, v0
	s_mul_i32 s3, s2, s10
	s_cselect_b64 s[4:5], -1, 0
	s_mov_b32 s17, 0
	s_mov_b32 s16, s9
	s_mul_i32 s20, s3, s9
	s_mul_i32 s3, s26, s10
	v_cndmask_b32_e64 v0, 0, 1, s[4:5]
	v_cmp_gt_u32_e64 s[0:1], s9, v4
	s_mul_i32 s3, s3, s9
	s_lshl_b64 s[18:19], s[16:17], 1
	v_cmp_ne_u32_e64 s[4:5], 1, v0
	v_mov_b32_e32 v1, 0
	s_mov_b32 s16, s20
	s_branch .LBB108_3
.LBB108_2:                              ;   in Loop: Header=BB108_3 Depth=1
	s_or_b64 exec, exec, s[20:21]
	s_add_i32 s2, s26, s2
	s_add_i32 s16, s16, s3
	s_cmp_ge_u32 s2, s8
	s_cbranch_scc1 .LBB108_9
.LBB108_3:                              ; =>This Loop Header: Depth=1
                                        ;     Child Loop BB108_6 Depth 2
                                        ;       Child Loop BB108_8 Depth 3
	s_and_saveexec_b64 s[20:21], s[0:1]
	s_cbranch_execz .LBB108_2
; %bb.4:                                ;   in Loop: Header=BB108_3 Depth=1
	s_load_dword s28, s[6:7], 0x4
	s_lshl_b64 s[22:23], s[16:17], 1
	s_mov_b64 s[24:25], 0
	v_mov_b32_e32 v0, v4
	s_waitcnt lgkmcnt(0)
	s_mul_i32 s28, s28, s27
	s_branch .LBB108_6
.LBB108_5:                              ;   in Loop: Header=BB108_6 Depth=2
	v_add_u32_e32 v0, s28, v0
	v_cmp_le_u32_e32 vcc, s9, v0
	s_or_b64 s[24:25], vcc, s[24:25]
	s_andn2_b64 exec, exec, s[24:25]
	s_cbranch_execz .LBB108_2
.LBB108_6:                              ;   Parent Loop BB108_3 Depth=1
                                        ; =>  This Loop Header: Depth=2
                                        ;       Child Loop BB108_8 Depth 3
	s_and_b64 vcc, exec, s[4:5]
	s_cbranch_vccnz .LBB108_5
; %bb.7:                                ;   in Loop: Header=BB108_6 Depth=2
	v_lshl_add_u64 v[2:3], v[0:1], 1, s[22:23]
	v_mov_b32_e32 v5, s11
	s_mov_b32 s29, s10
.LBB108_8:                              ;   Parent Loop BB108_3 Depth=1
                                        ;     Parent Loop BB108_6 Depth=2
                                        ; =>    This Inner Loop Header: Depth=3
	v_lshl_add_u64 v[6:7], s[14:15], 0, v[2:3]
	global_load_ushort v8, v[6:7], off
	s_add_i32 s29, s29, -1
	v_lshl_add_u64 v[6:7], s[12:13], 0, v[2:3]
	v_lshl_add_u64 v[2:3], v[2:3], 0, s[18:19]
	s_cmp_eq_u32 s29, 0
	s_waitcnt vmcnt(0)
	v_add_f16_e32 v5, v8, v5
	global_store_short v[6:7], v5, off
	s_cbranch_scc0 .LBB108_8
	s_branch .LBB108_5
.LBB108_9:
	s_endpgm
	.section	.rodata,"a",@progbits
	.p2align	6, 0x0
	.amdhsa_kernel _ZN2at6native28tensor_kernel_scan_outer_dimIN3c104HalfEjSt4plusIS3_EEEvPT_PKS6_jjjS6_T1_
		.amdhsa_group_segment_fixed_size 0
		.amdhsa_private_segment_fixed_size 0
		.amdhsa_kernarg_size 288
		.amdhsa_user_sgpr_count 2
		.amdhsa_user_sgpr_dispatch_ptr 0
		.amdhsa_user_sgpr_queue_ptr 0
		.amdhsa_user_sgpr_kernarg_segment_ptr 1
		.amdhsa_user_sgpr_dispatch_id 0
		.amdhsa_user_sgpr_kernarg_preload_length 0
		.amdhsa_user_sgpr_kernarg_preload_offset 0
		.amdhsa_user_sgpr_private_segment_size 0
		.amdhsa_uses_dynamic_stack 0
		.amdhsa_enable_private_segment 0
		.amdhsa_system_sgpr_workgroup_id_x 1
		.amdhsa_system_sgpr_workgroup_id_y 1
		.amdhsa_system_sgpr_workgroup_id_z 0
		.amdhsa_system_sgpr_workgroup_info 0
		.amdhsa_system_vgpr_workitem_id 0
		.amdhsa_next_free_vgpr 9
		.amdhsa_next_free_sgpr 30
		.amdhsa_accum_offset 12
		.amdhsa_reserve_vcc 1
		.amdhsa_float_round_mode_32 0
		.amdhsa_float_round_mode_16_64 0
		.amdhsa_float_denorm_mode_32 3
		.amdhsa_float_denorm_mode_16_64 3
		.amdhsa_dx10_clamp 1
		.amdhsa_ieee_mode 1
		.amdhsa_fp16_overflow 0
		.amdhsa_tg_split 0
		.amdhsa_exception_fp_ieee_invalid_op 0
		.amdhsa_exception_fp_denorm_src 0
		.amdhsa_exception_fp_ieee_div_zero 0
		.amdhsa_exception_fp_ieee_overflow 0
		.amdhsa_exception_fp_ieee_underflow 0
		.amdhsa_exception_fp_ieee_inexact 0
		.amdhsa_exception_int_div_zero 0
	.end_amdhsa_kernel
	.section	.text._ZN2at6native28tensor_kernel_scan_outer_dimIN3c104HalfEjSt4plusIS3_EEEvPT_PKS6_jjjS6_T1_,"axG",@progbits,_ZN2at6native28tensor_kernel_scan_outer_dimIN3c104HalfEjSt4plusIS3_EEEvPT_PKS6_jjjS6_T1_,comdat
.Lfunc_end108:
	.size	_ZN2at6native28tensor_kernel_scan_outer_dimIN3c104HalfEjSt4plusIS3_EEEvPT_PKS6_jjjS6_T1_, .Lfunc_end108-_ZN2at6native28tensor_kernel_scan_outer_dimIN3c104HalfEjSt4plusIS3_EEEvPT_PKS6_jjjS6_T1_
                                        ; -- End function
	.section	.AMDGPU.csdata,"",@progbits
; Kernel info:
; codeLenInByte = 316
; NumSgprs: 36
; NumVgprs: 9
; NumAgprs: 0
; TotalNumVgprs: 9
; ScratchSize: 0
; MemoryBound: 0
; FloatMode: 240
; IeeeMode: 1
; LDSByteSize: 0 bytes/workgroup (compile time only)
; SGPRBlocks: 4
; VGPRBlocks: 1
; NumSGPRsForWavesPerEU: 36
; NumVGPRsForWavesPerEU: 9
; AccumOffset: 12
; Occupancy: 8
; WaveLimiterHint : 0
; COMPUTE_PGM_RSRC2:SCRATCH_EN: 0
; COMPUTE_PGM_RSRC2:USER_SGPR: 2
; COMPUTE_PGM_RSRC2:TRAP_HANDLER: 0
; COMPUTE_PGM_RSRC2:TGID_X_EN: 1
; COMPUTE_PGM_RSRC2:TGID_Y_EN: 1
; COMPUTE_PGM_RSRC2:TGID_Z_EN: 0
; COMPUTE_PGM_RSRC2:TIDIG_COMP_CNT: 0
; COMPUTE_PGM_RSRC3_GFX90A:ACCUM_OFFSET: 2
; COMPUTE_PGM_RSRC3_GFX90A:TG_SPLIT: 0
	.section	.text._ZN2at6native28tensor_kernel_scan_outer_dimIN3c104HalfEmSt4plusIS3_EEEvPT_PKS6_jjjS6_T1_,"axG",@progbits,_ZN2at6native28tensor_kernel_scan_outer_dimIN3c104HalfEmSt4plusIS3_EEEvPT_PKS6_jjjS6_T1_,comdat
	.protected	_ZN2at6native28tensor_kernel_scan_outer_dimIN3c104HalfEmSt4plusIS3_EEEvPT_PKS6_jjjS6_T1_ ; -- Begin function _ZN2at6native28tensor_kernel_scan_outer_dimIN3c104HalfEmSt4plusIS3_EEEvPT_PKS6_jjjS6_T1_
	.globl	_ZN2at6native28tensor_kernel_scan_outer_dimIN3c104HalfEmSt4plusIS3_EEEvPT_PKS6_jjjS6_T1_
	.p2align	8
	.type	_ZN2at6native28tensor_kernel_scan_outer_dimIN3c104HalfEmSt4plusIS3_EEEvPT_PKS6_jjjS6_T1_,@function
_ZN2at6native28tensor_kernel_scan_outer_dimIN3c104HalfEmSt4plusIS3_EEEvPT_PKS6_jjjS6_T1_: ; @_ZN2at6native28tensor_kernel_scan_outer_dimIN3c104HalfEmSt4plusIS3_EEEvPT_PKS6_jjjS6_T1_
; %bb.0:
	s_load_dwordx4 s[8:11], s[0:1], 0x10
	s_waitcnt lgkmcnt(0)
	s_cmp_ge_u32 s2, s8
	s_cbranch_scc1 .LBB109_9
; %bb.1:
	s_load_dword s4, s[0:1], 0x2c
	s_load_dwordx4 s[12:15], s[0:1], 0x0
	s_load_dword s26, s[0:1], 0x20
	s_add_u32 s6, s0, 32
	s_addc_u32 s7, s1, 0
	s_waitcnt lgkmcnt(0)
	s_and_b32 s27, s4, 0xffff
	s_cmp_lg_u32 s10, 0
	s_mul_i32 s3, s3, s27
	s_cselect_b64 s[20:21], -1, 0
	v_add_u32_e32 v4, s3, v0
	s_mov_b32 s5, 0
	s_mov_b32 s4, s9
	s_mul_hi_u32 s17, s10, s9
	s_mul_i32 s16, s10, s9
	v_cndmask_b32_e64 v0, 0, 1, s[20:21]
	v_cmp_gt_u32_e64 s[0:1], s9, v4
	s_lshl_b64 s[16:17], s[16:17], 1
	s_lshl_b64 s[18:19], s[4:5], 1
	v_cmp_ne_u32_e64 s[4:5], 1, v0
	v_mov_b32_e32 v1, 0
	s_branch .LBB109_3
.LBB109_2:                              ;   in Loop: Header=BB109_3 Depth=1
	s_or_b64 exec, exec, s[20:21]
	s_add_i32 s2, s2, s26
	s_cmp_ge_u32 s2, s8
	s_cbranch_scc1 .LBB109_9
.LBB109_3:                              ; =>This Loop Header: Depth=1
                                        ;     Child Loop BB109_6 Depth 2
                                        ;       Child Loop BB109_8 Depth 3
	s_and_saveexec_b64 s[20:21], s[0:1]
	s_cbranch_execz .LBB109_2
; %bb.4:                                ;   in Loop: Header=BB109_3 Depth=1
	s_load_dword s3, s[6:7], 0x4
	s_mul_i32 s23, s17, s2
	s_mul_hi_u32 s24, s16, s2
	s_mul_i32 s22, s16, s2
	s_add_i32 s23, s24, s23
	s_waitcnt lgkmcnt(0)
	s_mul_i32 s3, s3, s27
	s_mov_b64 s[24:25], 0
	v_mov_b32_e32 v0, v4
	s_branch .LBB109_6
.LBB109_5:                              ;   in Loop: Header=BB109_6 Depth=2
	v_add_u32_e32 v0, s3, v0
	v_cmp_le_u32_e32 vcc, s9, v0
	s_or_b64 s[24:25], vcc, s[24:25]
	s_andn2_b64 exec, exec, s[24:25]
	s_cbranch_execz .LBB109_2
.LBB109_6:                              ;   Parent Loop BB109_3 Depth=1
                                        ; =>  This Loop Header: Depth=2
                                        ;       Child Loop BB109_8 Depth 3
	s_and_b64 vcc, exec, s[4:5]
	s_cbranch_vccnz .LBB109_5
; %bb.7:                                ;   in Loop: Header=BB109_6 Depth=2
	v_lshl_add_u64 v[2:3], v[0:1], 1, s[22:23]
	v_mov_b32_e32 v5, s11
	s_mov_b32 s28, s10
.LBB109_8:                              ;   Parent Loop BB109_3 Depth=1
                                        ;     Parent Loop BB109_6 Depth=2
                                        ; =>    This Inner Loop Header: Depth=3
	v_lshl_add_u64 v[6:7], s[14:15], 0, v[2:3]
	global_load_ushort v8, v[6:7], off
	s_add_i32 s28, s28, -1
	v_lshl_add_u64 v[6:7], s[12:13], 0, v[2:3]
	v_lshl_add_u64 v[2:3], v[2:3], 0, s[18:19]
	s_cmp_eq_u32 s28, 0
	s_waitcnt vmcnt(0)
	v_add_f16_e32 v5, v8, v5
	global_store_short v[6:7], v5, off
	s_cbranch_scc0 .LBB109_8
	s_branch .LBB109_5
.LBB109_9:
	s_endpgm
	.section	.rodata,"a",@progbits
	.p2align	6, 0x0
	.amdhsa_kernel _ZN2at6native28tensor_kernel_scan_outer_dimIN3c104HalfEmSt4plusIS3_EEEvPT_PKS6_jjjS6_T1_
		.amdhsa_group_segment_fixed_size 0
		.amdhsa_private_segment_fixed_size 0
		.amdhsa_kernarg_size 288
		.amdhsa_user_sgpr_count 2
		.amdhsa_user_sgpr_dispatch_ptr 0
		.amdhsa_user_sgpr_queue_ptr 0
		.amdhsa_user_sgpr_kernarg_segment_ptr 1
		.amdhsa_user_sgpr_dispatch_id 0
		.amdhsa_user_sgpr_kernarg_preload_length 0
		.amdhsa_user_sgpr_kernarg_preload_offset 0
		.amdhsa_user_sgpr_private_segment_size 0
		.amdhsa_uses_dynamic_stack 0
		.amdhsa_enable_private_segment 0
		.amdhsa_system_sgpr_workgroup_id_x 1
		.amdhsa_system_sgpr_workgroup_id_y 1
		.amdhsa_system_sgpr_workgroup_id_z 0
		.amdhsa_system_sgpr_workgroup_info 0
		.amdhsa_system_vgpr_workitem_id 0
		.amdhsa_next_free_vgpr 9
		.amdhsa_next_free_sgpr 29
		.amdhsa_accum_offset 12
		.amdhsa_reserve_vcc 1
		.amdhsa_float_round_mode_32 0
		.amdhsa_float_round_mode_16_64 0
		.amdhsa_float_denorm_mode_32 3
		.amdhsa_float_denorm_mode_16_64 3
		.amdhsa_dx10_clamp 1
		.amdhsa_ieee_mode 1
		.amdhsa_fp16_overflow 0
		.amdhsa_tg_split 0
		.amdhsa_exception_fp_ieee_invalid_op 0
		.amdhsa_exception_fp_denorm_src 0
		.amdhsa_exception_fp_ieee_div_zero 0
		.amdhsa_exception_fp_ieee_overflow 0
		.amdhsa_exception_fp_ieee_underflow 0
		.amdhsa_exception_fp_ieee_inexact 0
		.amdhsa_exception_int_div_zero 0
	.end_amdhsa_kernel
	.section	.text._ZN2at6native28tensor_kernel_scan_outer_dimIN3c104HalfEmSt4plusIS3_EEEvPT_PKS6_jjjS6_T1_,"axG",@progbits,_ZN2at6native28tensor_kernel_scan_outer_dimIN3c104HalfEmSt4plusIS3_EEEvPT_PKS6_jjjS6_T1_,comdat
.Lfunc_end109:
	.size	_ZN2at6native28tensor_kernel_scan_outer_dimIN3c104HalfEmSt4plusIS3_EEEvPT_PKS6_jjjS6_T1_, .Lfunc_end109-_ZN2at6native28tensor_kernel_scan_outer_dimIN3c104HalfEmSt4plusIS3_EEEvPT_PKS6_jjjS6_T1_
                                        ; -- End function
	.section	.AMDGPU.csdata,"",@progbits
; Kernel info:
; codeLenInByte = 316
; NumSgprs: 35
; NumVgprs: 9
; NumAgprs: 0
; TotalNumVgprs: 9
; ScratchSize: 0
; MemoryBound: 0
; FloatMode: 240
; IeeeMode: 1
; LDSByteSize: 0 bytes/workgroup (compile time only)
; SGPRBlocks: 4
; VGPRBlocks: 1
; NumSGPRsForWavesPerEU: 35
; NumVGPRsForWavesPerEU: 9
; AccumOffset: 12
; Occupancy: 8
; WaveLimiterHint : 0
; COMPUTE_PGM_RSRC2:SCRATCH_EN: 0
; COMPUTE_PGM_RSRC2:USER_SGPR: 2
; COMPUTE_PGM_RSRC2:TRAP_HANDLER: 0
; COMPUTE_PGM_RSRC2:TGID_X_EN: 1
; COMPUTE_PGM_RSRC2:TGID_Y_EN: 1
; COMPUTE_PGM_RSRC2:TGID_Z_EN: 0
; COMPUTE_PGM_RSRC2:TIDIG_COMP_CNT: 0
; COMPUTE_PGM_RSRC3_GFX90A:ACCUM_OFFSET: 2
; COMPUTE_PGM_RSRC3_GFX90A:TG_SPLIT: 0
	.section	.text._ZN2at4cuda3cub15calc_block_sumsILi512ELi16ELb0EN3c108BFloat16ES4_EEvPKT2_PT3_li,"axG",@progbits,_ZN2at4cuda3cub15calc_block_sumsILi512ELi16ELb0EN3c108BFloat16ES4_EEvPKT2_PT3_li,comdat
	.protected	_ZN2at4cuda3cub15calc_block_sumsILi512ELi16ELb0EN3c108BFloat16ES4_EEvPKT2_PT3_li ; -- Begin function _ZN2at4cuda3cub15calc_block_sumsILi512ELi16ELb0EN3c108BFloat16ES4_EEvPKT2_PT3_li
	.globl	_ZN2at4cuda3cub15calc_block_sumsILi512ELi16ELb0EN3c108BFloat16ES4_EEvPKT2_PT3_li
	.p2align	8
	.type	_ZN2at4cuda3cub15calc_block_sumsILi512ELi16ELb0EN3c108BFloat16ES4_EEvPKT2_PT3_li,@function
_ZN2at4cuda3cub15calc_block_sumsILi512ELi16ELb0EN3c108BFloat16ES4_EEvPKT2_PT3_li: ; @_ZN2at4cuda3cub15calc_block_sumsILi512ELi16ELb0EN3c108BFloat16ES4_EEvPKT2_PT3_li
; %bb.0:
	s_load_dword s16, s[0:1], 0x18
	s_load_dwordx2 s[10:11], s[0:1], 0x10
	s_waitcnt lgkmcnt(0)
	s_lshl_b32 s3, s16, 13
	s_ashr_i32 s4, s3, 31
	s_mul_hi_u32 s5, s3, s2
	s_mul_i32 s4, s4, s2
	s_add_i32 s13, s5, s4
	s_mul_i32 s12, s3, s2
	s_sub_u32 s8, s10, s12
	s_subb_u32 s9, s11, s13
	v_cmp_lt_i64_e64 s[4:5], s[8:9], 1
	s_and_b64 vcc, exec, s[4:5]
	s_cbranch_vccnz .LBB110_56
; %bb.1:
	s_load_dwordx4 s[4:7], s[0:1], 0x0
	s_cmp_gt_i32 s16, 0
	s_mov_b32 s3, 0
	s_cbranch_scc1 .LBB110_3
; %bb.2:
	s_mov_b64 s[0:1], -1
	v_mov_b32_e32 v3, s3
	s_cbranch_execz .LBB110_4
	s_branch .LBB110_53
.LBB110_3:
	s_mov_b64 s[0:1], 0
	v_mov_b32_e32 v3, s3
.LBB110_4:
	s_mul_i32 s11, s2, s16
	s_lshl_b32 s11, s11, 13
	s_sub_i32 s14, s10, s11
	s_lshl_b64 s[10:11], s[12:13], 1
	v_lshrrev_b32_e32 v2, 5, v0
	s_waitcnt lgkmcnt(0)
	s_add_u32 s4, s4, s10
	v_mbcnt_lo_u32_b32 v23, -1, 0
	v_and_b32_e32 v22, 30, v2
	v_lshlrev_b32_e32 v2, 1, v0
	v_mov_b32_e32 v3, 0
	s_addc_u32 s5, s5, s11
	v_mbcnt_hi_u32_b32 v23, -1, v23
	v_bfrev_b32_e32 v25, 0.5
	v_add_u32_e32 v1, 0x200, v0
	v_or_b32_e32 v8, 0x400, v0
	v_add_u32_e32 v9, 0x600, v0
	v_or_b32_e32 v10, 0x800, v0
	;; [unrolled: 2-line block ×7, first 2 shown]
	v_add_u32_e32 v21, 0x1e00, v0
	v_cmp_gt_u32_e64 s[0:1], 64, v0
	v_lshl_add_u64 v[6:7], s[4:5], 0, v[2:3]
	v_mov_b64_e32 v[4:5], 0x2000
	s_movk_i32 s15, 0x7fff
	s_mov_b64 s[4:5], 0x4000
	v_mov_b32_e32 v2, 0x7fc00000
	v_mov_b32_e32 v24, 0x7fc0
	v_lshl_or_b32 v25, v23, 2, v25
	s_branch .LBB110_6
.LBB110_5:                              ;   in Loop: Header=BB110_6 Depth=1
	v_lshlrev_b32_e32 v26, 16, v26
	v_lshlrev_b32_e32 v3, 16, v3
	v_add_f32_e32 v3, v26, v3
	v_bfe_u32 v26, v3, 16, 1
	s_add_u32 s8, s8, 0xffffe000
	v_add3_u32 v26, v3, v26, s15
	s_addc_u32 s9, s9, -1
	s_addk_i32 s14, 0xe000
	s_add_i32 s16, s16, -1
	v_lshrrev_b32_e32 v26, 16, v26
	v_cmp_o_f32_e32 vcc, v3, v3
	s_cmp_eq_u32 s16, 0
	v_lshl_add_u64 v[6:7], v[6:7], 0, s[4:5]
	v_cndmask_b32_e32 v3, v24, v26, vcc
	s_mov_b64 s[10:11], 0
	s_cselect_b64 s[12:13], -1, 0
	s_barrier
	s_andn2_b64 vcc, exec, s[12:13]
	s_cbranch_vccz .LBB110_52
.LBB110_6:                              ; =>This Inner Loop Header: Depth=1
	v_cmp_lt_i64_e32 vcc, s[8:9], v[4:5]
	s_mov_b64 s[10:11], -1
                                        ; implicit-def: $vgpr26
	s_cbranch_vccnz .LBB110_9
; %bb.7:                                ;   in Loop: Header=BB110_6 Depth=1
	s_and_b64 vcc, exec, s[10:11]
	s_cbranch_vccnz .LBB110_46
.LBB110_8:                              ;   in Loop: Header=BB110_6 Depth=1
	v_mov_b64_e32 v[28:29], 0x2001
	v_cmp_lt_i64_e32 vcc, s[8:9], v[28:29]
	s_cbranch_vccz .LBB110_5
	s_branch .LBB110_51
.LBB110_9:                              ;   in Loop: Header=BB110_6 Depth=1
	v_cmp_gt_u32_e32 vcc, s14, v0
	v_mov_b32_e32 v26, 0
	v_mov_b32_e32 v27, 0
	s_and_saveexec_b64 s[10:11], vcc
	s_cbranch_execz .LBB110_11
; %bb.10:                               ;   in Loop: Header=BB110_6 Depth=1
	global_load_ushort v27, v[6:7], off
.LBB110_11:                             ;   in Loop: Header=BB110_6 Depth=1
	s_or_b64 exec, exec, s[10:11]
	v_cmp_gt_u32_e32 vcc, s14, v1
	s_and_saveexec_b64 s[10:11], vcc
	s_cbranch_execz .LBB110_13
; %bb.12:                               ;   in Loop: Header=BB110_6 Depth=1
	global_load_ushort v26, v[6:7], off offset:1024
.LBB110_13:                             ;   in Loop: Header=BB110_6 Depth=1
	s_or_b64 exec, exec, s[10:11]
	v_cmp_gt_u32_e32 vcc, s14, v8
	v_mov_b32_e32 v28, 0
	v_mov_b32_e32 v29, 0
	s_and_saveexec_b64 s[10:11], vcc
	s_cbranch_execz .LBB110_15
; %bb.14:                               ;   in Loop: Header=BB110_6 Depth=1
	global_load_ushort v29, v[6:7], off offset:2048
.LBB110_15:                             ;   in Loop: Header=BB110_6 Depth=1
	s_or_b64 exec, exec, s[10:11]
	v_cmp_gt_u32_e32 vcc, s14, v9
	s_and_saveexec_b64 s[10:11], vcc
	s_cbranch_execz .LBB110_17
; %bb.16:                               ;   in Loop: Header=BB110_6 Depth=1
	global_load_ushort v28, v[6:7], off offset:3072
.LBB110_17:                             ;   in Loop: Header=BB110_6 Depth=1
	s_or_b64 exec, exec, s[10:11]
	v_cmp_gt_u32_e32 vcc, s14, v10
	v_mov_b32_e32 v30, 0
	v_mov_b32_e32 v31, 0
	s_and_saveexec_b64 s[10:11], vcc
	s_cbranch_execz .LBB110_19
; %bb.18:                               ;   in Loop: Header=BB110_6 Depth=1
	v_add_co_u32_e32 v32, vcc, 0x1000, v6
	s_nop 1
	v_addc_co_u32_e32 v33, vcc, 0, v7, vcc
	global_load_ushort v31, v[32:33], off
.LBB110_19:                             ;   in Loop: Header=BB110_6 Depth=1
	s_or_b64 exec, exec, s[10:11]
	v_cmp_gt_u32_e32 vcc, s14, v11
	s_and_saveexec_b64 s[10:11], vcc
	s_cbranch_execz .LBB110_21
; %bb.20:                               ;   in Loop: Header=BB110_6 Depth=1
	v_add_co_u32_e32 v32, vcc, 0x1000, v6
	s_nop 1
	v_addc_co_u32_e32 v33, vcc, 0, v7, vcc
	global_load_ushort v30, v[32:33], off offset:1024
.LBB110_21:                             ;   in Loop: Header=BB110_6 Depth=1
	s_or_b64 exec, exec, s[10:11]
	v_cmp_gt_u32_e32 vcc, s14, v12
	v_mov_b32_e32 v32, 0
	v_mov_b32_e32 v33, 0
	s_and_saveexec_b64 s[10:11], vcc
	s_cbranch_execz .LBB110_23
; %bb.22:                               ;   in Loop: Header=BB110_6 Depth=1
	v_add_co_u32_e32 v34, vcc, 0x1000, v6
	s_nop 1
	v_addc_co_u32_e32 v35, vcc, 0, v7, vcc
	global_load_ushort v33, v[34:35], off offset:2048
.LBB110_23:                             ;   in Loop: Header=BB110_6 Depth=1
	s_or_b64 exec, exec, s[10:11]
	v_cmp_gt_u32_e32 vcc, s14, v13
	s_and_saveexec_b64 s[10:11], vcc
	s_cbranch_execz .LBB110_25
; %bb.24:                               ;   in Loop: Header=BB110_6 Depth=1
	v_add_co_u32_e32 v34, vcc, 0x1000, v6
	s_nop 1
	v_addc_co_u32_e32 v35, vcc, 0, v7, vcc
	global_load_ushort v32, v[34:35], off offset:3072
.LBB110_25:                             ;   in Loop: Header=BB110_6 Depth=1
	s_or_b64 exec, exec, s[10:11]
	v_cmp_gt_u32_e32 vcc, s14, v14
	v_mov_b32_e32 v34, 0
	v_mov_b32_e32 v35, 0
	s_and_saveexec_b64 s[10:11], vcc
	s_cbranch_execz .LBB110_27
; %bb.26:                               ;   in Loop: Header=BB110_6 Depth=1
	v_add_co_u32_e32 v36, vcc, 0x2000, v6
	s_nop 1
	v_addc_co_u32_e32 v37, vcc, 0, v7, vcc
	global_load_ushort v35, v[36:37], off
.LBB110_27:                             ;   in Loop: Header=BB110_6 Depth=1
	s_or_b64 exec, exec, s[10:11]
	v_cmp_gt_u32_e32 vcc, s14, v15
	s_and_saveexec_b64 s[10:11], vcc
	s_cbranch_execz .LBB110_29
; %bb.28:                               ;   in Loop: Header=BB110_6 Depth=1
	v_add_co_u32_e32 v36, vcc, 0x2000, v6
	s_nop 1
	v_addc_co_u32_e32 v37, vcc, 0, v7, vcc
	global_load_ushort v34, v[36:37], off offset:1024
.LBB110_29:                             ;   in Loop: Header=BB110_6 Depth=1
	s_or_b64 exec, exec, s[10:11]
	v_cmp_gt_u32_e32 vcc, s14, v16
	v_mov_b32_e32 v36, 0
	v_mov_b32_e32 v37, 0
	s_and_saveexec_b64 s[10:11], vcc
	s_cbranch_execz .LBB110_31
; %bb.30:                               ;   in Loop: Header=BB110_6 Depth=1
	v_add_co_u32_e32 v38, vcc, 0x2000, v6
	s_nop 1
	v_addc_co_u32_e32 v39, vcc, 0, v7, vcc
	global_load_ushort v37, v[38:39], off offset:2048
.LBB110_31:                             ;   in Loop: Header=BB110_6 Depth=1
	s_or_b64 exec, exec, s[10:11]
	v_cmp_gt_u32_e32 vcc, s14, v17
	s_and_saveexec_b64 s[10:11], vcc
	s_cbranch_execz .LBB110_33
; %bb.32:                               ;   in Loop: Header=BB110_6 Depth=1
	v_add_co_u32_e32 v38, vcc, 0x2000, v6
	s_nop 1
	v_addc_co_u32_e32 v39, vcc, 0, v7, vcc
	global_load_ushort v36, v[38:39], off offset:3072
.LBB110_33:                             ;   in Loop: Header=BB110_6 Depth=1
	;; [unrolled: 44-line block ×3, first 2 shown]
	s_or_b64 exec, exec, s[10:11]
	s_waitcnt vmcnt(0)
	v_lshlrev_b32_e32 v27, 16, v27
	v_lshlrev_b32_e32 v26, 16, v26
	v_add_f32_e32 v26, v26, v27
	v_bfe_u32 v27, v26, 16, 1
	v_add3_u32 v27, v26, v27, s15
	v_and_b32_e32 v27, 0xffff0000, v27
	v_cmp_o_f32_e32 vcc, v26, v26
	s_barrier
	s_nop 0
	v_cndmask_b32_e32 v26, v2, v27, vcc
	v_lshlrev_b32_e32 v27, 16, v29
	v_add_f32_e32 v26, v26, v27
	v_bfe_u32 v27, v26, 16, 1
	v_add3_u32 v27, v26, v27, s15
	v_and_b32_e32 v27, 0xffff0000, v27
	v_cmp_o_f32_e32 vcc, v26, v26
	s_nop 1
	v_cndmask_b32_e32 v26, v2, v27, vcc
	v_lshlrev_b32_e32 v27, 16, v28
	v_add_f32_e32 v26, v26, v27
	v_bfe_u32 v27, v26, 16, 1
	v_add3_u32 v27, v26, v27, s15
	v_and_b32_e32 v27, 0xffff0000, v27
	v_cmp_o_f32_e32 vcc, v26, v26
	s_nop 1
	v_cndmask_b32_e32 v26, v2, v27, vcc
	v_lshlrev_b32_e32 v27, 16, v31
	v_add_f32_e32 v26, v26, v27
	v_bfe_u32 v27, v26, 16, 1
	v_add3_u32 v27, v26, v27, s15
	v_and_b32_e32 v27, 0xffff0000, v27
	v_cmp_o_f32_e32 vcc, v26, v26
	s_nop 1
	v_cndmask_b32_e32 v26, v2, v27, vcc
	v_lshlrev_b32_e32 v27, 16, v30
	v_add_f32_e32 v26, v26, v27
	v_bfe_u32 v27, v26, 16, 1
	v_add3_u32 v27, v26, v27, s15
	v_and_b32_e32 v27, 0xffff0000, v27
	v_cmp_o_f32_e32 vcc, v26, v26
	s_nop 1
	v_cndmask_b32_e32 v26, v2, v27, vcc
	v_lshlrev_b32_e32 v27, 16, v33
	v_add_f32_e32 v26, v26, v27
	v_bfe_u32 v27, v26, 16, 1
	v_add3_u32 v27, v26, v27, s15
	v_and_b32_e32 v27, 0xffff0000, v27
	v_cmp_o_f32_e32 vcc, v26, v26
	s_nop 1
	v_cndmask_b32_e32 v26, v2, v27, vcc
	v_lshlrev_b32_e32 v27, 16, v32
	v_add_f32_e32 v26, v26, v27
	v_bfe_u32 v27, v26, 16, 1
	v_add3_u32 v27, v26, v27, s15
	v_and_b32_e32 v27, 0xffff0000, v27
	v_cmp_o_f32_e32 vcc, v26, v26
	s_nop 1
	v_cndmask_b32_e32 v26, v2, v27, vcc
	v_lshlrev_b32_e32 v27, 16, v35
	v_add_f32_e32 v26, v26, v27
	v_bfe_u32 v27, v26, 16, 1
	v_add3_u32 v27, v26, v27, s15
	v_and_b32_e32 v27, 0xffff0000, v27
	v_cmp_o_f32_e32 vcc, v26, v26
	s_nop 1
	v_cndmask_b32_e32 v26, v2, v27, vcc
	v_lshlrev_b32_e32 v27, 16, v34
	v_add_f32_e32 v26, v26, v27
	v_bfe_u32 v27, v26, 16, 1
	v_add3_u32 v27, v26, v27, s15
	v_and_b32_e32 v27, 0xffff0000, v27
	v_cmp_o_f32_e32 vcc, v26, v26
	s_nop 1
	v_cndmask_b32_e32 v26, v2, v27, vcc
	v_lshlrev_b32_e32 v27, 16, v37
	v_add_f32_e32 v26, v26, v27
	v_bfe_u32 v27, v26, 16, 1
	v_add3_u32 v27, v26, v27, s15
	v_and_b32_e32 v27, 0xffff0000, v27
	v_cmp_o_f32_e32 vcc, v26, v26
	s_nop 1
	v_cndmask_b32_e32 v26, v2, v27, vcc
	v_lshlrev_b32_e32 v27, 16, v36
	v_add_f32_e32 v26, v26, v27
	v_bfe_u32 v27, v26, 16, 1
	v_add3_u32 v27, v26, v27, s15
	v_and_b32_e32 v27, 0xffff0000, v27
	v_cmp_o_f32_e32 vcc, v26, v26
	s_nop 1
	v_cndmask_b32_e32 v26, v2, v27, vcc
	v_lshlrev_b32_e32 v27, 16, v39
	v_add_f32_e32 v26, v26, v27
	v_bfe_u32 v27, v26, 16, 1
	v_add3_u32 v27, v26, v27, s15
	v_and_b32_e32 v27, 0xffff0000, v27
	v_cmp_o_f32_e32 vcc, v26, v26
	s_nop 1
	v_cndmask_b32_e32 v26, v2, v27, vcc
	v_lshlrev_b32_e32 v27, 16, v38
	v_add_f32_e32 v26, v26, v27
	v_bfe_u32 v27, v26, 16, 1
	v_add3_u32 v27, v26, v27, s15
	v_and_b32_e32 v27, 0xffff0000, v27
	v_cmp_o_f32_e32 vcc, v26, v26
	s_nop 1
	v_cndmask_b32_e32 v26, v2, v27, vcc
	v_lshlrev_b32_e32 v27, 16, v41
	v_add_f32_e32 v26, v26, v27
	v_bfe_u32 v27, v26, 16, 1
	v_add3_u32 v27, v26, v27, s15
	v_and_b32_e32 v27, 0xffff0000, v27
	v_cmp_o_f32_e32 vcc, v26, v26
	s_nop 1
	v_cndmask_b32_e32 v26, v2, v27, vcc
	v_lshlrev_b32_e32 v27, 16, v40
	v_add_f32_e32 v26, v26, v27
	v_bfe_u32 v27, v26, 16, 1
	v_add3_u32 v27, v26, v27, s15
	v_lshrrev_b32_e32 v27, 16, v27
	v_cmp_o_f32_e32 vcc, v26, v26
	s_nop 1
	v_cndmask_b32_e32 v26, v24, v27, vcc
	s_nop 1
	v_mov_b32_dpp v27, v26 quad_perm:[1,0,3,2] row_mask:0xf bank_mask:0xf
	v_lshlrev_b32_e32 v26, 16, v26
	v_lshlrev_b32_e32 v27, 16, v27
	v_add_f32_e32 v26, v26, v27
	v_bfe_u32 v27, v26, 16, 1
	v_add3_u32 v27, v26, v27, s15
	v_lshrrev_b32_e32 v27, 16, v27
	v_cmp_o_f32_e32 vcc, v26, v26
	s_nop 1
	v_cndmask_b32_e32 v26, v24, v27, vcc
	s_nop 1
	v_mov_b32_dpp v27, v26 quad_perm:[2,3,0,1] row_mask:0xf bank_mask:0xf
	v_lshlrev_b32_e32 v26, 16, v26
	v_lshlrev_b32_e32 v27, 16, v27
	v_add_f32_e32 v26, v26, v27
	v_bfe_u32 v27, v26, 16, 1
	v_add3_u32 v27, v26, v27, s15
	v_lshrrev_b32_e32 v27, 16, v27
	v_cmp_o_f32_e32 vcc, v26, v26
	s_nop 1
	v_cndmask_b32_e32 v26, v24, v27, vcc
	s_nop 1
	v_mov_b32_dpp v27, v26 row_ror:4 row_mask:0xf bank_mask:0xf
	v_lshlrev_b32_e32 v26, 16, v26
	v_lshlrev_b32_e32 v27, 16, v27
	v_add_f32_e32 v26, v26, v27
	v_bfe_u32 v27, v26, 16, 1
	v_add3_u32 v27, v26, v27, s15
	v_lshrrev_b32_e32 v27, 16, v27
	v_cmp_o_f32_e32 vcc, v26, v26
	s_nop 1
	v_cndmask_b32_e32 v26, v24, v27, vcc
	s_nop 1
	v_mov_b32_dpp v27, v26 row_ror:8 row_mask:0xf bank_mask:0xf
	v_lshlrev_b32_e32 v26, 16, v26
	v_lshlrev_b32_e32 v27, 16, v27
	v_add_f32_e32 v26, v26, v27
	v_bfe_u32 v27, v26, 16, 1
	v_add3_u32 v27, v26, v27, s15
	v_lshrrev_b32_e32 v27, 16, v27
	v_cmp_o_f32_e32 vcc, v26, v26
	s_nop 1
	v_cndmask_b32_e32 v26, v24, v27, vcc
	s_nop 1
	v_mov_b32_dpp v27, v26 row_bcast:15 row_mask:0xf bank_mask:0xf
	v_lshlrev_b32_e32 v26, 16, v26
	v_lshlrev_b32_e32 v27, 16, v27
	v_add_f32_e32 v26, v26, v27
	v_bfe_u32 v27, v26, 16, 1
	v_add3_u32 v27, v26, v27, s15
	v_lshrrev_b32_e32 v27, 16, v27
	v_cmp_o_f32_e32 vcc, v26, v26
	s_nop 1
	v_cndmask_b32_e32 v26, v24, v27, vcc
	s_nop 1
	v_mov_b32_dpp v27, v26 row_bcast:31 row_mask:0xf bank_mask:0xf
	v_lshlrev_b32_e32 v26, 16, v26
	v_lshlrev_b32_e32 v27, 16, v27
	v_add_f32_e32 v26, v26, v27
	v_bfe_u32 v27, v26, 16, 1
	v_add3_u32 v27, v26, v27, s15
	v_lshrrev_b32_e32 v27, 16, v27
	v_cmp_o_f32_e32 vcc, v26, v26
	s_nop 1
	v_cndmask_b32_e32 v26, v24, v27, vcc
	ds_bpermute_b32 v26, v25, v26
	v_cmp_eq_u32_e32 vcc, 0, v23
	s_and_saveexec_b64 s[10:11], vcc
	s_cbranch_execz .LBB110_43
; %bb.42:                               ;   in Loop: Header=BB110_6 Depth=1
	s_waitcnt lgkmcnt(0)
	ds_write_b16 v22, v26
.LBB110_43:                             ;   in Loop: Header=BB110_6 Depth=1
	s_or_b64 exec, exec, s[10:11]
	s_waitcnt lgkmcnt(0)
	s_barrier
	s_and_saveexec_b64 s[10:11], s[0:1]
	s_cbranch_execz .LBB110_45
; %bb.44:                               ;   in Loop: Header=BB110_6 Depth=1
	v_and_b32_e32 v26, 7, v23
	v_lshlrev_b32_e32 v27, 1, v26
	ds_read_u16 v27, v27
	v_cmp_ne_u32_e32 vcc, 7, v26
	s_nop 1
	v_addc_co_u32_e32 v28, vcc, 0, v23, vcc
	v_lshlrev_b32_e32 v28, 2, v28
	s_waitcnt lgkmcnt(0)
	ds_bpermute_b32 v28, v28, v27
	v_lshlrev_b32_e32 v27, 16, v27
	v_cmp_gt_u32_e32 vcc, 6, v26
	s_waitcnt lgkmcnt(0)
	v_lshlrev_b32_e32 v28, 16, v28
	v_add_f32_e32 v27, v28, v27
	v_bfe_u32 v28, v27, 16, 1
	v_add3_u32 v28, v27, v28, s15
	v_cndmask_b32_e64 v29, 0, 1, vcc
	v_lshrrev_b32_e32 v28, 16, v28
	v_cmp_o_f32_e32 vcc, v27, v27
	s_nop 1
	v_cndmask_b32_e32 v27, v24, v28, vcc
	v_lshlrev_b32_e32 v28, 1, v29
	v_add_lshl_u32 v28, v28, v23, 2
	ds_bpermute_b32 v28, v28, v27
	v_lshlrev_b32_e32 v27, 16, v27
	s_waitcnt lgkmcnt(0)
	v_lshlrev_b32_e32 v28, 16, v28
	v_add_f32_e32 v27, v27, v28
	v_bfe_u32 v28, v27, 16, 1
	v_add3_u32 v28, v27, v28, s15
	v_lshrrev_b32_e32 v28, 16, v28
	v_cmp_o_f32_e32 vcc, v27, v27
	s_nop 1
	v_cndmask_b32_e32 v27, v24, v28, vcc
	v_cmp_gt_u32_e32 vcc, 4, v26
	s_nop 1
	v_cndmask_b32_e64 v26, 0, 1, vcc
	v_lshlrev_b32_e32 v26, 2, v26
	v_add_lshl_u32 v26, v26, v23, 2
	ds_bpermute_b32 v26, v26, v27
	v_lshlrev_b32_e32 v27, 16, v27
	s_waitcnt lgkmcnt(0)
	v_lshlrev_b32_e32 v26, 16, v26
	v_add_f32_e32 v26, v27, v26
	v_bfe_u32 v27, v26, 16, 1
	v_add3_u32 v27, v26, v27, s15
	v_lshrrev_b32_e32 v27, 16, v27
	v_cmp_o_f32_e32 vcc, v26, v26
	s_nop 1
	v_cndmask_b32_e32 v26, v24, v27, vcc
.LBB110_45:                             ;   in Loop: Header=BB110_6 Depth=1
	s_or_b64 exec, exec, s[10:11]
	s_branch .LBB110_8
.LBB110_46:                             ;   in Loop: Header=BB110_6 Depth=1
	global_load_ushort v30, v[6:7], off offset:2048
	global_load_ushort v31, v[6:7], off offset:3072
	;; [unrolled: 1-line block ×3, first 2 shown]
	global_load_ushort v33, v[6:7], off
	v_add_co_u32_e32 v26, vcc, 0x1000, v6
	s_waitcnt vmcnt(3)
	v_lshlrev_b32_e32 v30, 16, v30
	v_addc_co_u32_e32 v27, vcc, 0, v7, vcc
	v_add_co_u32_e32 v28, vcc, 0x2000, v6
	s_waitcnt vmcnt(2)
	v_lshlrev_b32_e32 v31, 16, v31
	v_addc_co_u32_e32 v29, vcc, 0, v7, vcc
	global_load_ushort v34, v[26:27], off
	global_load_ushort v35, v[26:27], off offset:1024
	global_load_ushort v36, v[26:27], off offset:2048
	;; [unrolled: 1-line block ×3, first 2 shown]
	global_load_ushort v38, v[28:29], off
	global_load_ushort v39, v[28:29], off offset:1024
	global_load_ushort v40, v[28:29], off offset:2048
	;; [unrolled: 1-line block ×3, first 2 shown]
	v_add_co_u32_e32 v26, vcc, 0x3000, v6
	s_nop 1
	v_addc_co_u32_e32 v27, vcc, 0, v7, vcc
	global_load_ushort v28, v[26:27], off
	global_load_ushort v29, v[26:27], off offset:1024
	global_load_ushort v42, v[26:27], off offset:2048
	global_load_ushort v43, v[26:27], off offset:3072
	s_waitcnt vmcnt(12)
	v_lshlrev_b32_e32 v26, 16, v33
	v_lshlrev_b32_e32 v27, 16, v32
	v_add_f32_e32 v26, v27, v26
	v_bfe_u32 v27, v26, 16, 1
	v_add3_u32 v27, v26, v27, s15
	v_and_b32_e32 v27, 0xffff0000, v27
	v_cmp_o_f32_e32 vcc, v26, v26
	s_barrier
	s_nop 0
	v_cndmask_b32_e32 v26, v2, v27, vcc
	v_add_f32_e32 v26, v26, v30
	v_bfe_u32 v27, v26, 16, 1
	v_add3_u32 v27, v26, v27, s15
	v_and_b32_e32 v27, 0xffff0000, v27
	v_cmp_o_f32_e32 vcc, v26, v26
	s_waitcnt vmcnt(11)
	v_lshlrev_b32_e32 v32, 16, v34
	v_cndmask_b32_e32 v26, v2, v27, vcc
	v_add_f32_e32 v26, v26, v31
	v_bfe_u32 v27, v26, 16, 1
	v_add3_u32 v27, v26, v27, s15
	v_and_b32_e32 v27, 0xffff0000, v27
	v_cmp_o_f32_e32 vcc, v26, v26
	s_waitcnt vmcnt(10)
	v_lshlrev_b32_e32 v33, 16, v35
	s_waitcnt vmcnt(9)
	v_lshlrev_b32_e32 v34, 16, v36
	v_cndmask_b32_e32 v26, v2, v27, vcc
	v_add_f32_e32 v26, v26, v32
	v_bfe_u32 v27, v26, 16, 1
	v_add3_u32 v27, v26, v27, s15
	v_and_b32_e32 v27, 0xffff0000, v27
	v_cmp_o_f32_e32 vcc, v26, v26
	s_waitcnt vmcnt(8)
	v_lshlrev_b32_e32 v35, 16, v37
	;; [unrolled: 10-line block ×6, first 2 shown]
	v_cndmask_b32_e32 v26, v2, v27, vcc
	v_add_f32_e32 v26, v26, v37
	v_bfe_u32 v27, v26, 16, 1
	v_add3_u32 v27, v26, v27, s15
	v_and_b32_e32 v27, 0xffff0000, v27
	v_cmp_o_f32_e32 vcc, v26, v26
	s_nop 1
	v_cndmask_b32_e32 v26, v2, v27, vcc
	v_add_f32_e32 v26, v26, v38
	v_bfe_u32 v27, v26, 16, 1
	v_add3_u32 v27, v26, v27, s15
	v_and_b32_e32 v27, 0xffff0000, v27
	v_cmp_o_f32_e32 vcc, v26, v26
	s_nop 1
	;; [unrolled: 7-line block ×6, first 2 shown]
	v_cndmask_b32_e32 v26, v2, v27, vcc
	v_add_f32_e32 v26, v26, v41
	v_bfe_u32 v27, v26, 16, 1
	v_add3_u32 v27, v26, v27, s15
	v_lshrrev_b32_e32 v27, 16, v27
	v_cmp_o_f32_e32 vcc, v26, v26
	s_nop 1
	v_cndmask_b32_e32 v26, v24, v27, vcc
	s_nop 1
	v_mov_b32_dpp v27, v26 quad_perm:[1,0,3,2] row_mask:0xf bank_mask:0xf
	v_lshlrev_b32_e32 v26, 16, v26
	v_lshlrev_b32_e32 v27, 16, v27
	v_add_f32_e32 v26, v26, v27
	v_bfe_u32 v27, v26, 16, 1
	v_add3_u32 v27, v26, v27, s15
	v_lshrrev_b32_e32 v27, 16, v27
	v_cmp_o_f32_e32 vcc, v26, v26
	s_nop 1
	v_cndmask_b32_e32 v26, v24, v27, vcc
	s_nop 1
	v_mov_b32_dpp v27, v26 quad_perm:[2,3,0,1] row_mask:0xf bank_mask:0xf
	v_lshlrev_b32_e32 v26, 16, v26
	v_lshlrev_b32_e32 v27, 16, v27
	v_add_f32_e32 v26, v26, v27
	v_bfe_u32 v27, v26, 16, 1
	v_add3_u32 v27, v26, v27, s15
	v_lshrrev_b32_e32 v27, 16, v27
	v_cmp_o_f32_e32 vcc, v26, v26
	s_nop 1
	v_cndmask_b32_e32 v26, v24, v27, vcc
	s_nop 1
	v_mov_b32_dpp v27, v26 row_ror:4 row_mask:0xf bank_mask:0xf
	v_lshlrev_b32_e32 v26, 16, v26
	v_lshlrev_b32_e32 v27, 16, v27
	v_add_f32_e32 v26, v26, v27
	v_bfe_u32 v27, v26, 16, 1
	v_add3_u32 v27, v26, v27, s15
	v_lshrrev_b32_e32 v27, 16, v27
	v_cmp_o_f32_e32 vcc, v26, v26
	s_nop 1
	v_cndmask_b32_e32 v26, v24, v27, vcc
	s_nop 1
	v_mov_b32_dpp v27, v26 row_ror:8 row_mask:0xf bank_mask:0xf
	v_lshlrev_b32_e32 v26, 16, v26
	v_lshlrev_b32_e32 v27, 16, v27
	v_add_f32_e32 v26, v26, v27
	v_bfe_u32 v27, v26, 16, 1
	v_add3_u32 v27, v26, v27, s15
	v_lshrrev_b32_e32 v27, 16, v27
	v_cmp_o_f32_e32 vcc, v26, v26
	s_nop 1
	v_cndmask_b32_e32 v26, v24, v27, vcc
	s_nop 1
	v_mov_b32_dpp v27, v26 row_bcast:15 row_mask:0xf bank_mask:0xf
	v_lshlrev_b32_e32 v26, 16, v26
	v_lshlrev_b32_e32 v27, 16, v27
	v_add_f32_e32 v26, v26, v27
	v_bfe_u32 v27, v26, 16, 1
	v_add3_u32 v27, v26, v27, s15
	v_lshrrev_b32_e32 v27, 16, v27
	v_cmp_o_f32_e32 vcc, v26, v26
	s_nop 1
	v_cndmask_b32_e32 v26, v24, v27, vcc
	s_nop 1
	v_mov_b32_dpp v27, v26 row_bcast:31 row_mask:0xf bank_mask:0xf
	v_lshlrev_b32_e32 v26, 16, v26
	v_lshlrev_b32_e32 v27, 16, v27
	v_add_f32_e32 v26, v26, v27
	v_bfe_u32 v27, v26, 16, 1
	v_add3_u32 v27, v26, v27, s15
	v_lshrrev_b32_e32 v27, 16, v27
	v_cmp_o_f32_e32 vcc, v26, v26
	s_nop 1
	v_cndmask_b32_e32 v26, v24, v27, vcc
	ds_bpermute_b32 v26, v25, v26
	v_cmp_eq_u32_e32 vcc, 0, v23
	s_and_saveexec_b64 s[10:11], vcc
	s_cbranch_execz .LBB110_48
; %bb.47:                               ;   in Loop: Header=BB110_6 Depth=1
	s_waitcnt lgkmcnt(0)
	ds_write_b16 v22, v26
.LBB110_48:                             ;   in Loop: Header=BB110_6 Depth=1
	s_or_b64 exec, exec, s[10:11]
	s_waitcnt lgkmcnt(0)
	s_barrier
	s_and_saveexec_b64 s[10:11], s[0:1]
	s_cbranch_execz .LBB110_50
; %bb.49:                               ;   in Loop: Header=BB110_6 Depth=1
	v_and_b32_e32 v26, 7, v23
	v_lshlrev_b32_e32 v27, 1, v26
	ds_read_u16 v27, v27
	v_cmp_ne_u32_e32 vcc, 7, v26
	s_nop 1
	v_addc_co_u32_e32 v28, vcc, 0, v23, vcc
	v_lshlrev_b32_e32 v28, 2, v28
	s_waitcnt lgkmcnt(0)
	ds_bpermute_b32 v28, v28, v27
	v_lshlrev_b32_e32 v27, 16, v27
	v_cmp_gt_u32_e32 vcc, 6, v26
	s_waitcnt lgkmcnt(0)
	v_lshlrev_b32_e32 v28, 16, v28
	v_add_f32_e32 v27, v28, v27
	v_bfe_u32 v28, v27, 16, 1
	v_add3_u32 v28, v27, v28, s15
	v_cndmask_b32_e64 v29, 0, 1, vcc
	v_lshrrev_b32_e32 v28, 16, v28
	v_cmp_o_f32_e32 vcc, v27, v27
	s_nop 1
	v_cndmask_b32_e32 v27, v24, v28, vcc
	v_lshlrev_b32_e32 v28, 1, v29
	v_add_lshl_u32 v28, v28, v23, 2
	ds_bpermute_b32 v28, v28, v27
	v_lshlrev_b32_e32 v27, 16, v27
	s_waitcnt lgkmcnt(0)
	v_lshlrev_b32_e32 v28, 16, v28
	v_add_f32_e32 v27, v27, v28
	v_bfe_u32 v28, v27, 16, 1
	v_add3_u32 v28, v27, v28, s15
	v_lshrrev_b32_e32 v28, 16, v28
	v_cmp_o_f32_e32 vcc, v27, v27
	s_nop 1
	v_cndmask_b32_e32 v27, v24, v28, vcc
	v_cmp_gt_u32_e32 vcc, 4, v26
	s_nop 1
	v_cndmask_b32_e64 v26, 0, 1, vcc
	v_lshlrev_b32_e32 v26, 2, v26
	v_add_lshl_u32 v26, v26, v23, 2
	ds_bpermute_b32 v26, v26, v27
	v_lshlrev_b32_e32 v27, 16, v27
	s_waitcnt lgkmcnt(0)
	v_lshlrev_b32_e32 v26, 16, v26
	v_add_f32_e32 v26, v27, v26
	v_bfe_u32 v27, v26, 16, 1
	v_add3_u32 v27, v26, v27, s15
	v_lshrrev_b32_e32 v27, 16, v27
	v_cmp_o_f32_e32 vcc, v26, v26
	s_nop 1
	v_cndmask_b32_e32 v26, v24, v27, vcc
.LBB110_50:                             ;   in Loop: Header=BB110_6 Depth=1
	s_or_b64 exec, exec, s[10:11]
	v_mov_b64_e32 v[28:29], 0x2001
	v_cmp_lt_i64_e32 vcc, s[8:9], v[28:29]
	s_cbranch_vccz .LBB110_5
.LBB110_51:
	s_mov_b64 s[10:11], -1
                                        ; implicit-def: $sgpr8_sgpr9
                                        ; implicit-def: $sgpr14
                                        ; implicit-def: $sgpr16
                                        ; implicit-def: $vgpr6_vgpr7
                                        ; implicit-def: $vgpr3
.LBB110_52:
	s_xor_b64 s[0:1], s[10:11], -1
.LBB110_53:
	s_and_b64 vcc, exec, s[0:1]
	s_cbranch_vccz .LBB110_56
; %bb.54:
	v_cmp_eq_u32_e32 vcc, 0, v0
	s_and_saveexec_b64 s[0:1], vcc
	s_cbranch_execz .LBB110_56
; %bb.55:
	s_lshl_b64 s[0:1], s[2:3], 1
	s_waitcnt lgkmcnt(0)
	s_add_u32 s0, s6, s0
	s_addc_u32 s1, s7, s1
	v_mov_b32_e32 v0, 0
	global_store_short v0, v3, s[0:1]
.LBB110_56:
	s_endpgm
	.section	.rodata,"a",@progbits
	.p2align	6, 0x0
	.amdhsa_kernel _ZN2at4cuda3cub15calc_block_sumsILi512ELi16ELb0EN3c108BFloat16ES4_EEvPKT2_PT3_li
		.amdhsa_group_segment_fixed_size 16
		.amdhsa_private_segment_fixed_size 0
		.amdhsa_kernarg_size 28
		.amdhsa_user_sgpr_count 2
		.amdhsa_user_sgpr_dispatch_ptr 0
		.amdhsa_user_sgpr_queue_ptr 0
		.amdhsa_user_sgpr_kernarg_segment_ptr 1
		.amdhsa_user_sgpr_dispatch_id 0
		.amdhsa_user_sgpr_kernarg_preload_length 0
		.amdhsa_user_sgpr_kernarg_preload_offset 0
		.amdhsa_user_sgpr_private_segment_size 0
		.amdhsa_uses_dynamic_stack 0
		.amdhsa_enable_private_segment 0
		.amdhsa_system_sgpr_workgroup_id_x 1
		.amdhsa_system_sgpr_workgroup_id_y 0
		.amdhsa_system_sgpr_workgroup_id_z 0
		.amdhsa_system_sgpr_workgroup_info 0
		.amdhsa_system_vgpr_workitem_id 0
		.amdhsa_next_free_vgpr 44
		.amdhsa_next_free_sgpr 17
		.amdhsa_accum_offset 44
		.amdhsa_reserve_vcc 1
		.amdhsa_float_round_mode_32 0
		.amdhsa_float_round_mode_16_64 0
		.amdhsa_float_denorm_mode_32 3
		.amdhsa_float_denorm_mode_16_64 3
		.amdhsa_dx10_clamp 1
		.amdhsa_ieee_mode 1
		.amdhsa_fp16_overflow 0
		.amdhsa_tg_split 0
		.amdhsa_exception_fp_ieee_invalid_op 0
		.amdhsa_exception_fp_denorm_src 0
		.amdhsa_exception_fp_ieee_div_zero 0
		.amdhsa_exception_fp_ieee_overflow 0
		.amdhsa_exception_fp_ieee_underflow 0
		.amdhsa_exception_fp_ieee_inexact 0
		.amdhsa_exception_int_div_zero 0
	.end_amdhsa_kernel
	.section	.text._ZN2at4cuda3cub15calc_block_sumsILi512ELi16ELb0EN3c108BFloat16ES4_EEvPKT2_PT3_li,"axG",@progbits,_ZN2at4cuda3cub15calc_block_sumsILi512ELi16ELb0EN3c108BFloat16ES4_EEvPKT2_PT3_li,comdat
.Lfunc_end110:
	.size	_ZN2at4cuda3cub15calc_block_sumsILi512ELi16ELb0EN3c108BFloat16ES4_EEvPKT2_PT3_li, .Lfunc_end110-_ZN2at4cuda3cub15calc_block_sumsILi512ELi16ELb0EN3c108BFloat16ES4_EEvPKT2_PT3_li
                                        ; -- End function
	.section	.AMDGPU.csdata,"",@progbits
; Kernel info:
; codeLenInByte = 4040
; NumSgprs: 23
; NumVgprs: 44
; NumAgprs: 0
; TotalNumVgprs: 44
; ScratchSize: 0
; MemoryBound: 0
; FloatMode: 240
; IeeeMode: 1
; LDSByteSize: 16 bytes/workgroup (compile time only)
; SGPRBlocks: 2
; VGPRBlocks: 5
; NumSGPRsForWavesPerEU: 23
; NumVGPRsForWavesPerEU: 44
; AccumOffset: 44
; Occupancy: 8
; WaveLimiterHint : 1
; COMPUTE_PGM_RSRC2:SCRATCH_EN: 0
; COMPUTE_PGM_RSRC2:USER_SGPR: 2
; COMPUTE_PGM_RSRC2:TRAP_HANDLER: 0
; COMPUTE_PGM_RSRC2:TGID_X_EN: 1
; COMPUTE_PGM_RSRC2:TGID_Y_EN: 0
; COMPUTE_PGM_RSRC2:TGID_Z_EN: 0
; COMPUTE_PGM_RSRC2:TIDIG_COMP_CNT: 0
; COMPUTE_PGM_RSRC3_GFX90A:ACCUM_OFFSET: 10
; COMPUTE_PGM_RSRC3_GFX90A:TG_SPLIT: 0
	.section	.text._ZN2at4cuda3cub17final_scan_kernelILi512ELi16EN3c108BFloat16EEEvPKT1_PS5_S8_li,"axG",@progbits,_ZN2at4cuda3cub17final_scan_kernelILi512ELi16EN3c108BFloat16EEEvPKT1_PS5_S8_li,comdat
	.protected	_ZN2at4cuda3cub17final_scan_kernelILi512ELi16EN3c108BFloat16EEEvPKT1_PS5_S8_li ; -- Begin function _ZN2at4cuda3cub17final_scan_kernelILi512ELi16EN3c108BFloat16EEEvPKT1_PS5_S8_li
	.globl	_ZN2at4cuda3cub17final_scan_kernelILi512ELi16EN3c108BFloat16EEEvPKT1_PS5_S8_li
	.p2align	8
	.type	_ZN2at4cuda3cub17final_scan_kernelILi512ELi16EN3c108BFloat16EEEvPKT1_PS5_S8_li,@function
_ZN2at4cuda3cub17final_scan_kernelILi512ELi16EN3c108BFloat16EEEvPKT1_PS5_S8_li: ; @_ZN2at4cuda3cub17final_scan_kernelILi512ELi16EN3c108BFloat16EEEvPKT1_PS5_S8_li
; %bb.0:
	s_load_dword s33, s[0:1], 0x20
	s_load_dwordx8 s[40:47], s[0:1], 0x0
	s_waitcnt lgkmcnt(0)
	s_lshl_b32 s3, s33, 13
	s_ashr_i32 s4, s3, 31
	s_mul_hi_u32 s5, s3, s2
	s_mul_i32 s4, s4, s2
	s_add_i32 s35, s5, s4
	s_mul_i32 s34, s3, s2
	s_sub_u32 s38, s46, s34
	s_subb_u32 s39, s47, s35
	v_cmp_lt_i64_e64 s[4:5], s[38:39], 1
	s_and_b64 vcc, exec, s[4:5]
	s_cbranch_vccnz .LBB111_118
; %bb.1:
	v_cmp_gt_u32_e32 vcc, s2, v0
	v_mov_b32_e32 v4, 0
	v_lshlrev_b32_e32 v20, 1, v0
	s_and_saveexec_b64 s[4:5], vcc
	s_cbranch_execz .LBB111_3
; %bb.2:
	global_load_ushort v4, v20, s[44:45]
.LBB111_3:
	s_or_b64 exec, exec, s[4:5]
	s_load_dword s0, s[0:1], 0x34
	s_waitcnt lgkmcnt(0)
	s_and_b32 s3, s0, 0xffff
	v_add_u32_e32 v2, s3, v0
	v_cmp_gt_u32_e32 vcc, s2, v2
	s_and_saveexec_b64 s[0:1], vcc
	s_cbranch_execz .LBB111_7
; %bb.4:
	s_mov_b64 s[4:5], 0
	v_mov_b32_e32 v3, 0
	s_movk_i32 s6, 0x7fff
	v_mov_b32_e32 v1, 0x7fc0
.LBB111_5:                              ; =>This Inner Loop Header: Depth=1
	v_lshl_add_u64 v[6:7], v[2:3], 1, s[44:45]
	global_load_ushort v5, v[6:7], off
	s_waitcnt vmcnt(1)
	v_lshlrev_b32_e32 v4, 16, v4
	v_add_u32_e32 v2, s3, v2
	v_cmp_le_u32_e32 vcc, s2, v2
	s_or_b64 s[4:5], vcc, s[4:5]
	s_waitcnt vmcnt(0)
	v_lshlrev_b32_e32 v5, 16, v5
	v_add_f32_e32 v4, v5, v4
	v_bfe_u32 v5, v4, 16, 1
	v_add3_u32 v5, v4, v5, s6
	v_lshrrev_b32_e32 v5, 16, v5
	v_cmp_o_f32_e32 vcc, v4, v4
	s_nop 1
	v_cndmask_b32_e32 v4, v1, v5, vcc
	s_andn2_b64 exec, exec, s[4:5]
	s_cbranch_execnz .LBB111_5
; %bb.6:
	s_or_b64 exec, exec, s[4:5]
.LBB111_7:
	s_or_b64 exec, exec, s[0:1]
	s_waitcnt vmcnt(0)
	v_and_b32_e32 v2, 0xffff, v4
	v_lshlrev_b32_e32 v3, 16, v4
	s_movk_i32 s0, 0x7fff
	v_mov_b32_dpp v2, v2 quad_perm:[1,0,3,2] row_mask:0xf bank_mask:0xf
	v_lshlrev_b32_e32 v2, 16, v2
	v_add_f32_e32 v2, v2, v3
	v_bfe_u32 v3, v2, 16, 1
	v_add3_u32 v3, v2, v3, s0
	v_lshrrev_b32_e32 v3, 16, v3
	v_mov_b32_e32 v4, 0x7fc0
	v_cmp_o_f32_e32 vcc, v2, v2
	v_mbcnt_lo_u32_b32 v1, -1, 0
	v_mbcnt_hi_u32_b32 v1, -1, v1
	v_cndmask_b32_e32 v2, v4, v3, vcc
	s_nop 1
	v_mov_b32_dpp v3, v2 quad_perm:[2,3,0,1] row_mask:0xf bank_mask:0xf
	v_lshlrev_b32_e32 v2, 16, v2
	v_lshlrev_b32_e32 v3, 16, v3
	v_add_f32_e32 v2, v2, v3
	v_bfe_u32 v3, v2, 16, 1
	v_add3_u32 v3, v2, v3, s0
	v_lshrrev_b32_e32 v3, 16, v3
	v_cmp_o_f32_e32 vcc, v2, v2
	s_nop 1
	v_cndmask_b32_e32 v2, v4, v3, vcc
	s_nop 1
	v_mov_b32_dpp v3, v2 row_ror:4 row_mask:0xf bank_mask:0xf
	v_lshlrev_b32_e32 v2, 16, v2
	v_lshlrev_b32_e32 v3, 16, v3
	v_add_f32_e32 v2, v2, v3
	v_bfe_u32 v3, v2, 16, 1
	v_add3_u32 v3, v2, v3, s0
	v_lshrrev_b32_e32 v3, 16, v3
	v_cmp_o_f32_e32 vcc, v2, v2
	s_nop 1
	v_cndmask_b32_e32 v2, v4, v3, vcc
	s_nop 1
	v_mov_b32_dpp v3, v2 row_ror:8 row_mask:0xf bank_mask:0xf
	v_lshlrev_b32_e32 v2, 16, v2
	v_lshlrev_b32_e32 v3, 16, v3
	v_add_f32_e32 v2, v2, v3
	v_bfe_u32 v3, v2, 16, 1
	v_add3_u32 v3, v2, v3, s0
	v_lshrrev_b32_e32 v3, 16, v3
	v_cmp_o_f32_e32 vcc, v2, v2
	s_nop 1
	v_cndmask_b32_e32 v2, v4, v3, vcc
	s_nop 1
	v_mov_b32_dpp v3, v2 row_bcast:15 row_mask:0xf bank_mask:0xf
	v_lshlrev_b32_e32 v2, 16, v2
	v_lshlrev_b32_e32 v3, 16, v3
	v_add_f32_e32 v2, v2, v3
	v_bfe_u32 v3, v2, 16, 1
	v_add3_u32 v3, v2, v3, s0
	v_lshrrev_b32_e32 v3, 16, v3
	v_cmp_o_f32_e32 vcc, v2, v2
	s_nop 1
	v_cndmask_b32_e32 v2, v4, v3, vcc
	s_nop 1
	v_mov_b32_dpp v3, v2 row_bcast:31 row_mask:0xf bank_mask:0xf
	v_lshlrev_b32_e32 v2, 16, v2
	v_lshlrev_b32_e32 v3, 16, v3
	v_add_f32_e32 v2, v2, v3
	v_bfe_u32 v3, v2, 16, 1
	v_add3_u32 v3, v2, v3, s0
	v_lshrrev_b32_e32 v3, 16, v3
	v_cmp_o_f32_e32 vcc, v2, v2
	v_cmp_eq_u32_e64 s[0:1], 0, v1
	s_nop 0
	v_cndmask_b32_e32 v2, v4, v3, vcc
	v_bfrev_b32_e32 v3, 0.5
	v_lshl_or_b32 v3, v1, 2, v3
	ds_bpermute_b32 v21, v3, v2
	s_and_saveexec_b64 s[4:5], s[0:1]
	s_cbranch_execz .LBB111_9
; %bb.8:
	v_lshrrev_b32_e32 v2, 5, v0
	v_and_b32_e32 v2, 30, v2
	s_waitcnt lgkmcnt(0)
	ds_write_b16 v2, v21
.LBB111_9:
	s_or_b64 exec, exec, s[4:5]
	v_cmp_lt_u32_e64 s[36:37], 63, v0
	v_cmp_gt_u32_e64 s[4:5], 64, v0
	v_and_b32_e32 v2, 7, v1
	s_waitcnt lgkmcnt(0)
	s_barrier
	s_and_saveexec_b64 s[6:7], s[4:5]
	s_cbranch_execz .LBB111_11
; %bb.10:
	v_lshlrev_b32_e32 v3, 1, v2
	ds_read_u16 v3, v3
	v_cmp_ne_u32_e32 vcc, 7, v2
	s_movk_i32 s3, 0x7fff
	v_mov_b32_e32 v5, 0x7fc0
	v_addc_co_u32_e32 v4, vcc, 0, v1, vcc
	v_lshlrev_b32_e32 v4, 2, v4
	s_waitcnt lgkmcnt(0)
	ds_bpermute_b32 v4, v4, v3
	v_lshlrev_b32_e32 v3, 16, v3
	s_waitcnt lgkmcnt(0)
	v_lshlrev_b32_e32 v4, 16, v4
	v_add_f32_e32 v3, v4, v3
	v_bfe_u32 v4, v3, 16, 1
	v_add3_u32 v4, v3, v4, s3
	v_lshrrev_b32_e32 v4, 16, v4
	v_cmp_o_f32_e32 vcc, v3, v3
	s_nop 1
	v_cndmask_b32_e32 v3, v5, v4, vcc
	v_cmp_gt_u32_e32 vcc, 6, v2
	s_nop 1
	v_cndmask_b32_e64 v4, 0, 1, vcc
	v_lshlrev_b32_e32 v4, 1, v4
	v_add_lshl_u32 v4, v4, v1, 2
	ds_bpermute_b32 v4, v4, v3
	v_lshlrev_b32_e32 v3, 16, v3
	s_waitcnt lgkmcnt(0)
	v_lshlrev_b32_e32 v4, 16, v4
	v_add_f32_e32 v3, v3, v4
	v_bfe_u32 v4, v3, 16, 1
	v_add3_u32 v4, v3, v4, s3
	v_lshrrev_b32_e32 v4, 16, v4
	v_cmp_o_f32_e32 vcc, v3, v3
	s_nop 1
	v_cndmask_b32_e32 v3, v5, v4, vcc
	v_cmp_gt_u32_e32 vcc, 4, v2
	s_nop 1
	v_cndmask_b32_e64 v4, 0, 1, vcc
	v_lshlrev_b32_e32 v4, 2, v4
	v_add_lshl_u32 v4, v4, v1, 2
	ds_bpermute_b32 v4, v4, v3
	v_lshlrev_b32_e32 v3, 16, v3
	s_waitcnt lgkmcnt(0)
	v_lshlrev_b32_e32 v4, 16, v4
	v_add_f32_e32 v3, v3, v4
	v_bfe_u32 v4, v3, 16, 1
	v_add3_u32 v4, v3, v4, s3
	v_lshrrev_b32_e32 v4, 16, v4
	v_cmp_o_f32_e32 vcc, v3, v3
	s_nop 1
	v_cndmask_b32_e32 v21, v5, v4, vcc
.LBB111_11:
	s_or_b64 exec, exec, s[6:7]
	s_cmp_lt_i32 s33, 1
	s_barrier
	s_cbranch_scc1 .LBB111_118
; %bb.12:
	v_lshlrev_b32_e32 v3, 4, v0
	s_movk_i32 s3, 0x3c00
	v_and_or_b32 v22, v3, s3, v1
	v_lshrrev_b32_e32 v3, 5, v22
	v_add_u32_e32 v23, 64, v22
	v_and_b32_e32 v3, 0x1e2, v3
	v_add_lshl_u32 v38, v3, v22, 1
	v_lshrrev_b32_e32 v3, 5, v23
	v_or_b32_e32 v24, 0x80, v22
	v_and_b32_e32 v3, 0x1e6, v3
	v_add_lshl_u32 v39, v3, v23, 1
	v_lshrrev_b32_e32 v3, 5, v24
	v_add_u32_e32 v25, 0xc0, v22
	v_and_b32_e32 v3, 0x1e6, v3
	v_add_lshl_u32 v40, v3, v24, 1
	v_lshrrev_b32_e32 v3, 5, v25
	v_or_b32_e32 v26, 0x100, v22
	v_and_b32_e32 v3, 0x1ee, v3
	v_add_lshl_u32 v41, v3, v25, 1
	;; [unrolled: 8-line block ×7, first 2 shown]
	v_lshrrev_b32_e32 v3, 5, v36
	v_add_u32_e32 v37, 0x3c0, v22
	v_and_b32_e32 v3, 0x1fe, v3
	v_add_lshl_u32 v52, v3, v36, 1
	v_lshrrev_b32_e32 v3, 5, v37
	v_and_b32_e32 v3, 0x3fe, v3
	v_add_lshl_u32 v53, v3, v37, 1
	v_and_b32_e32 v3, 0x3c0, v0
	v_add_u16_e32 v5, v1, v3
	v_lshrrev_b16_e32 v5, 1, v5
	v_add_lshl_u32 v4, v1, v3, 4
	v_and_b32_e32 v5, 0x3fe, v5
	v_min_u32_e32 v3, 0x1c0, v3
	v_add_lshl_u32 v54, v5, v4, 1
	v_and_b32_e32 v4, 15, v1
	v_or_b32_e32 v3, 63, v3
	v_cmp_ne_u32_e64 s[6:7], 0, v4
	v_cmp_lt_u32_e64 s[8:9], 1, v4
	v_cmp_lt_u32_e64 s[10:11], 3, v4
	;; [unrolled: 1-line block ×3, first 2 shown]
	v_and_b32_e32 v4, 16, v1
	v_cmp_eq_u32_e64 s[18:19], v3, v0
	v_cmp_ne_u32_e64 s[22:23], 0, v2
	v_cmp_lt_u32_e64 s[24:25], 1, v2
	v_cmp_lt_u32_e64 s[26:27], 3, v2
	v_add_u32_e32 v2, -1, v1
	v_and_b32_e32 v3, 64, v1
	v_cmp_ne_u32_e64 s[14:15], 0, v4
	v_lshrrev_b32_e32 v4, 6, v0
	v_cmp_lt_i32_e32 vcc, v2, v3
	v_mov_b32_e32 v9, 0
	v_cmp_lt_u32_e64 s[16:17], 31, v1
	v_cmp_gt_u32_e64 s[20:21], 8, v0
	v_cndmask_b32_e32 v2, v2, v1, vcc
	v_cmp_eq_u32_e64 s[28:29], 0, v0
	v_cmp_ne_u32_e64 s[30:31], 0, v0
	v_lshlrev_b32_e32 v8, 1, v1
	v_lshlrev_b32_e32 v0, 11, v4
	v_mov_b32_e32 v1, v9
	s_mul_i32 s2, s2, s33
	v_lshlrev_b32_e32 v55, 1, v4
	v_lshl_add_u64 v[0:1], s[34:35], 1, v[0:1]
	s_lshl_b32 s2, s2, 13
	v_add_u32_e32 v56, -2, v55
	v_lshlrev_b32_e32 v57, 2, v2
	v_lshl_add_u64 v[12:13], s[40:41], 0, v[0:1]
	s_sub_i32 s46, s46, s2
	v_lshl_add_u64 v[16:17], s[42:43], 0, v[0:1]
	v_mov_b64_e32 v[10:11], 0x2000
	v_mov_b64_e32 v[14:15], 0x1fff
	s_movk_i32 s44, 0x7fff
	s_mov_b32 s45, 0x5040100
	s_mov_b64 s[40:41], 0x4000
	v_mov_b32_e32 v58, 0x7fc00000
	v_mov_b32_e32 v59, 0x7fc0
	s_branch .LBB111_14
.LBB111_13:                             ;   in Loop: Header=BB111_14 Depth=1
	s_add_u32 s38, s38, 0xffffe000
	s_addc_u32 s39, s39, -1
	s_add_i32 s33, s33, -1
	s_addk_i32 s46, 0xe000
	s_cmp_eq_u32 s33, 0
	v_lshl_add_u64 v[12:13], v[12:13], 0, s[40:41]
	v_lshl_add_u64 v[16:17], v[16:17], 0, s[40:41]
	s_cselect_b64 s[2:3], -1, 0
	s_waitcnt lgkmcnt(0)
	s_barrier
	s_andn2_b64 vcc, exec, s[2:3]
	s_cbranch_vccz .LBB111_118
.LBB111_14:                             ; =>This Inner Loop Header: Depth=1
	v_cmp_gt_i64_e32 vcc, s[38:39], v[14:15]
	s_mov_b64 s[2:3], -1
	v_cmp_gt_u32_e64 s[34:35], s46, v22
	s_cbranch_vccnz .LBB111_48
; %bb.15:                               ;   in Loop: Header=BB111_14 Depth=1
	v_lshl_add_u64 v[0:1], v[12:13], 0, v[8:9]
	v_mov_b32_e32 v2, 0
	v_mov_b32_e32 v3, 0
	s_and_saveexec_b64 s[2:3], s[34:35]
	s_cbranch_execz .LBB111_17
; %bb.16:                               ;   in Loop: Header=BB111_14 Depth=1
	global_load_ushort v3, v[0:1], off
.LBB111_17:                             ;   in Loop: Header=BB111_14 Depth=1
	s_or_b64 exec, exec, s[2:3]
	v_cmp_gt_u32_e32 vcc, s46, v23
	s_and_saveexec_b64 s[2:3], vcc
	s_cbranch_execz .LBB111_19
; %bb.18:                               ;   in Loop: Header=BB111_14 Depth=1
	global_load_ushort v2, v[0:1], off offset:128
.LBB111_19:                             ;   in Loop: Header=BB111_14 Depth=1
	s_or_b64 exec, exec, s[2:3]
	v_cmp_gt_u32_e32 vcc, s46, v24
	v_mov_b32_e32 v4, 0
	v_mov_b32_e32 v5, 0
	s_and_saveexec_b64 s[2:3], vcc
	s_cbranch_execz .LBB111_21
; %bb.20:                               ;   in Loop: Header=BB111_14 Depth=1
	global_load_ushort v5, v[0:1], off offset:256
.LBB111_21:                             ;   in Loop: Header=BB111_14 Depth=1
	s_or_b64 exec, exec, s[2:3]
	v_cmp_gt_u32_e32 vcc, s46, v25
	s_and_saveexec_b64 s[2:3], vcc
	s_cbranch_execz .LBB111_23
; %bb.22:                               ;   in Loop: Header=BB111_14 Depth=1
	global_load_ushort v4, v[0:1], off offset:384
.LBB111_23:                             ;   in Loop: Header=BB111_14 Depth=1
	s_or_b64 exec, exec, s[2:3]
	v_cmp_gt_u32_e32 vcc, s46, v26
	v_mov_b32_e32 v6, 0
	v_mov_b32_e32 v7, 0
	s_and_saveexec_b64 s[2:3], vcc
	s_cbranch_execz .LBB111_25
; %bb.24:                               ;   in Loop: Header=BB111_14 Depth=1
	global_load_ushort v7, v[0:1], off offset:512
.LBB111_25:                             ;   in Loop: Header=BB111_14 Depth=1
	;; [unrolled: 16-line block ×3, first 2 shown]
	s_or_b64 exec, exec, s[2:3]
	v_cmp_gt_u32_e32 vcc, s46, v29
	s_and_saveexec_b64 s[2:3], vcc
	s_cbranch_execz .LBB111_31
; %bb.30:                               ;   in Loop: Header=BB111_14 Depth=1
	global_load_ushort v18, v[0:1], off offset:896
.LBB111_31:                             ;   in Loop: Header=BB111_14 Depth=1
	s_or_b64 exec, exec, s[2:3]
	v_cmp_gt_u32_e32 vcc, s46, v30
	s_waitcnt lgkmcnt(0)
	v_mov_b32_e32 v60, 0
	v_mov_b32_e32 v61, 0
	s_and_saveexec_b64 s[2:3], vcc
	s_cbranch_execz .LBB111_33
; %bb.32:                               ;   in Loop: Header=BB111_14 Depth=1
	global_load_ushort v61, v[0:1], off offset:1024
.LBB111_33:                             ;   in Loop: Header=BB111_14 Depth=1
	s_or_b64 exec, exec, s[2:3]
	v_cmp_gt_u32_e32 vcc, s46, v31
	s_and_saveexec_b64 s[2:3], vcc
	s_cbranch_execz .LBB111_35
; %bb.34:                               ;   in Loop: Header=BB111_14 Depth=1
	global_load_ushort v60, v[0:1], off offset:1152
.LBB111_35:                             ;   in Loop: Header=BB111_14 Depth=1
	s_or_b64 exec, exec, s[2:3]
	v_cmp_gt_u32_e32 vcc, s46, v32
	v_mov_b32_e32 v62, 0
	v_mov_b32_e32 v63, 0
	s_and_saveexec_b64 s[2:3], vcc
	s_cbranch_execz .LBB111_37
; %bb.36:                               ;   in Loop: Header=BB111_14 Depth=1
	global_load_ushort v63, v[0:1], off offset:1280
.LBB111_37:                             ;   in Loop: Header=BB111_14 Depth=1
	s_or_b64 exec, exec, s[2:3]
	v_cmp_gt_u32_e32 vcc, s46, v33
	s_and_saveexec_b64 s[2:3], vcc
	s_cbranch_execz .LBB111_39
; %bb.38:                               ;   in Loop: Header=BB111_14 Depth=1
	global_load_ushort v62, v[0:1], off offset:1408
.LBB111_39:                             ;   in Loop: Header=BB111_14 Depth=1
	s_or_b64 exec, exec, s[2:3]
	v_cmp_gt_u32_e32 vcc, s46, v34
	;; [unrolled: 16-line block ×3, first 2 shown]
	v_mov_b32_e32 v66, 0
	v_mov_b32_e32 v67, 0
	s_and_saveexec_b64 s[2:3], vcc
	s_cbranch_execz .LBB111_45
; %bb.44:                               ;   in Loop: Header=BB111_14 Depth=1
	global_load_ushort v67, v[0:1], off offset:1792
.LBB111_45:                             ;   in Loop: Header=BB111_14 Depth=1
	s_or_b64 exec, exec, s[2:3]
	v_cmp_gt_u32_e32 vcc, s46, v37
	s_and_saveexec_b64 s[2:3], vcc
	s_cbranch_execz .LBB111_47
; %bb.46:                               ;   in Loop: Header=BB111_14 Depth=1
	global_load_ushort v66, v[0:1], off offset:1920
.LBB111_47:                             ;   in Loop: Header=BB111_14 Depth=1
	s_or_b64 exec, exec, s[2:3]
	s_mov_b64 s[2:3], 0
	s_waitcnt vmcnt(0)
	ds_write_b16 v38, v3
	ds_write_b16 v39, v2
	;; [unrolled: 1-line block ×16, first 2 shown]
	; wave barrier
.LBB111_48:                             ;   in Loop: Header=BB111_14 Depth=1
	s_and_b64 vcc, exec, s[2:3]
	s_cbranch_vccz .LBB111_50
; %bb.49:                               ;   in Loop: Header=BB111_14 Depth=1
	v_lshl_add_u64 v[0:1], v[12:13], 0, v[8:9]
	global_load_ushort v2, v[0:1], off
	global_load_ushort v3, v[0:1], off offset:128
	global_load_ushort v4, v[0:1], off offset:256
	;; [unrolled: 1-line block ×7, first 2 shown]
	s_waitcnt lgkmcnt(0)
	global_load_ushort v60, v[0:1], off offset:1024
	global_load_ushort v61, v[0:1], off offset:1152
	;; [unrolled: 1-line block ×7, first 2 shown]
	s_nop 0
	global_load_ushort v0, v[0:1], off offset:1920
	s_waitcnt vmcnt(15)
	ds_write_b16 v38, v2
	s_waitcnt vmcnt(14)
	ds_write_b16 v39, v3
	s_waitcnt vmcnt(13)
	ds_write_b16 v40, v4
	s_waitcnt vmcnt(12)
	ds_write_b16 v41, v5
	s_waitcnt vmcnt(11)
	ds_write_b16 v42, v6
	s_waitcnt vmcnt(10)
	ds_write_b16 v43, v7
	s_waitcnt vmcnt(9)
	ds_write_b16 v44, v18
	s_waitcnt vmcnt(8)
	ds_write_b16 v45, v19
	s_waitcnt vmcnt(7)
	ds_write_b16 v46, v60
	s_waitcnt vmcnt(6)
	ds_write_b16 v47, v61
	s_waitcnt vmcnt(5)
	ds_write_b16 v48, v62
	s_waitcnt vmcnt(4)
	ds_write_b16 v49, v63
	s_waitcnt vmcnt(3)
	ds_write_b16 v50, v64
	s_waitcnt vmcnt(2)
	ds_write_b16 v51, v65
	s_waitcnt vmcnt(1)
	ds_write_b16 v52, v66
	s_waitcnt vmcnt(0)
	ds_write_b16 v53, v0
	; wave barrier
.LBB111_50:                             ;   in Loop: Header=BB111_14 Depth=1
	ds_read_b128 v[4:7], v54
	s_waitcnt lgkmcnt(7)
	ds_read_b128 v[66:69], v54 offset:16
	s_waitcnt lgkmcnt(0)
	s_barrier
	v_and_b32_e32 v0, 0xffff0000, v4
	v_lshlrev_b32_e32 v65, 16, v4
	v_add_f32_e32 v1, v0, v65
	v_bfe_u32 v2, v1, 16, 1
	v_add3_u32 v2, v1, v2, s44
	v_and_b32_e32 v2, 0xffff0000, v2
	v_cmp_o_f32_e32 vcc, v1, v1
	v_lshlrev_b32_e32 v1, 16, v5
	s_nop 0
	v_cndmask_b32_e32 v2, v58, v2, vcc
	v_add_f32_e32 v2, v2, v1
	v_bfe_u32 v3, v2, 16, 1
	v_add3_u32 v3, v2, v3, s44
	v_and_b32_e32 v3, 0xffff0000, v3
	v_cmp_o_f32_e32 vcc, v2, v2
	v_and_b32_e32 v2, 0xffff0000, v5
	s_nop 0
	v_cndmask_b32_e32 v3, v58, v3, vcc
	v_add_f32_e32 v3, v3, v2
	v_bfe_u32 v4, v3, 16, 1
	v_add3_u32 v4, v3, v4, s44
	v_and_b32_e32 v4, 0xffff0000, v4
	v_cmp_o_f32_e32 vcc, v3, v3
	v_lshlrev_b32_e32 v3, 16, v6
	s_nop 0
	v_cndmask_b32_e32 v4, v58, v4, vcc
	v_add_f32_e32 v4, v4, v3
	v_bfe_u32 v5, v4, 16, 1
	v_add3_u32 v5, v4, v5, s44
	v_and_b32_e32 v5, 0xffff0000, v5
	v_cmp_o_f32_e32 vcc, v4, v4
	v_and_b32_e32 v4, 0xffff0000, v6
	s_nop 0
	v_cndmask_b32_e32 v5, v58, v5, vcc
	;; [unrolled: 16-line block ×7, first 2 shown]
	v_add_f32_e32 v66, v66, v64
	v_bfe_u32 v67, v66, 16, 1
	v_add3_u32 v67, v66, v67, s44
	v_lshrrev_b32_e32 v67, 16, v67
	v_cmp_o_f32_e32 vcc, v66, v66
	s_nop 1
	v_cndmask_b32_e32 v66, v59, v67, vcc
	v_and_b32_e32 v67, 0xffff, v66
	s_nop 1
	v_mov_b32_dpp v68, v67 row_shr:1 row_mask:0xf bank_mask:0xf
	s_and_saveexec_b64 s[2:3], s[6:7]
; %bb.51:                               ;   in Loop: Header=BB111_14 Depth=1
	v_lshlrev_b32_e32 v66, 16, v68
	v_lshlrev_b32_e32 v67, 16, v67
	v_add_f32_e32 v66, v67, v66
	v_bfe_u32 v67, v66, 16, 1
	v_add3_u32 v67, v66, v67, s44
	v_lshrrev_b32_e32 v67, 16, v67
	v_cmp_o_f32_e32 vcc, v66, v66
	s_nop 1
	v_cndmask_b32_e32 v66, v59, v67, vcc
	v_and_b32_e32 v67, 0xffff, v66
; %bb.52:                               ;   in Loop: Header=BB111_14 Depth=1
	s_or_b64 exec, exec, s[2:3]
	s_nop 0
	v_mov_b32_dpp v68, v67 row_shr:2 row_mask:0xf bank_mask:0xf
	s_and_saveexec_b64 s[2:3], s[8:9]
; %bb.53:                               ;   in Loop: Header=BB111_14 Depth=1
	v_lshlrev_b32_e32 v66, 16, v67
	v_lshlrev_b32_e32 v67, 16, v68
	v_add_f32_e32 v66, v67, v66
	v_bfe_u32 v67, v66, 16, 1
	v_add3_u32 v67, v66, v67, s44
	v_lshrrev_b32_e32 v67, 16, v67
	v_cmp_o_f32_e32 vcc, v66, v66
	s_nop 1
	v_cndmask_b32_e32 v66, v59, v67, vcc
	v_and_b32_e32 v67, 0xffff, v66
; %bb.54:                               ;   in Loop: Header=BB111_14 Depth=1
	s_or_b64 exec, exec, s[2:3]
	;; [unrolled: 16-line block ×4, first 2 shown]
	s_nop 0
	v_mov_b32_dpp v68, v67 row_bcast:15 row_mask:0xf bank_mask:0xf
	s_and_saveexec_b64 s[2:3], s[14:15]
; %bb.59:                               ;   in Loop: Header=BB111_14 Depth=1
	v_lshlrev_b32_e32 v66, 16, v67
	v_lshlrev_b32_e32 v67, 16, v68
	v_add_f32_e32 v66, v67, v66
	v_bfe_u32 v67, v66, 16, 1
	v_add3_u32 v67, v66, v67, s44
	v_lshrrev_b32_e32 v67, 16, v67
	v_cmp_o_f32_e32 vcc, v66, v66
	s_nop 1
	v_cndmask_b32_e32 v66, v59, v67, vcc
	v_and_b32_e32 v67, 0xffff, v66
; %bb.60:                               ;   in Loop: Header=BB111_14 Depth=1
	s_or_b64 exec, exec, s[2:3]
	s_nop 0
	v_mov_b32_dpp v68, v67 row_bcast:31 row_mask:0xf bank_mask:0xf
	s_and_saveexec_b64 s[2:3], s[16:17]
; %bb.61:                               ;   in Loop: Header=BB111_14 Depth=1
	v_lshlrev_b32_e32 v66, 16, v67
	v_lshlrev_b32_e32 v67, 16, v68
	v_add_f32_e32 v66, v67, v66
	v_bfe_u32 v67, v66, 16, 1
	v_add3_u32 v67, v66, v67, s44
	v_lshrrev_b32_e32 v67, 16, v67
	v_cmp_o_f32_e32 vcc, v66, v66
	s_nop 1
	v_cndmask_b32_e32 v66, v59, v67, vcc
; %bb.62:                               ;   in Loop: Header=BB111_14 Depth=1
	s_or_b64 exec, exec, s[2:3]
	s_and_saveexec_b64 s[2:3], s[18:19]
	s_cbranch_execz .LBB111_64
; %bb.63:                               ;   in Loop: Header=BB111_14 Depth=1
	ds_write_b16 v55, v66
.LBB111_64:                             ;   in Loop: Header=BB111_14 Depth=1
	s_or_b64 exec, exec, s[2:3]
	s_waitcnt lgkmcnt(0)
	s_barrier
	s_and_saveexec_b64 s[2:3], s[20:21]
	s_cbranch_execz .LBB111_72
; %bb.65:                               ;   in Loop: Header=BB111_14 Depth=1
	ds_read_u16 v67, v20
	s_waitcnt lgkmcnt(0)
	v_and_b32_e32 v68, 0xffff, v67
	s_nop 1
	v_mov_b32_dpp v69, v68 row_shr:1 row_mask:0xf bank_mask:0xf
	s_and_saveexec_b64 s[34:35], s[22:23]
; %bb.66:                               ;   in Loop: Header=BB111_14 Depth=1
	v_lshlrev_b32_e32 v67, 16, v68
	v_lshlrev_b32_e32 v68, 16, v69
	v_add_f32_e32 v67, v68, v67
	v_bfe_u32 v68, v67, 16, 1
	v_add3_u32 v68, v67, v68, s44
	v_lshrrev_b32_e32 v68, 16, v68
	v_cmp_o_f32_e32 vcc, v67, v67
	s_nop 1
	v_cndmask_b32_e32 v67, v59, v68, vcc
	v_and_b32_e32 v68, 0xffff, v67
; %bb.67:                               ;   in Loop: Header=BB111_14 Depth=1
	s_or_b64 exec, exec, s[34:35]
	s_nop 0
	v_mov_b32_dpp v69, v68 row_shr:2 row_mask:0xf bank_mask:0xf
	s_and_saveexec_b64 s[34:35], s[24:25]
; %bb.68:                               ;   in Loop: Header=BB111_14 Depth=1
	v_lshlrev_b32_e32 v67, 16, v68
	v_lshlrev_b32_e32 v68, 16, v69
	v_add_f32_e32 v67, v68, v67
	v_bfe_u32 v68, v67, 16, 1
	v_add3_u32 v68, v67, v68, s44
	v_lshrrev_b32_e32 v68, 16, v68
	v_cmp_o_f32_e32 vcc, v67, v67
	s_nop 1
	v_cndmask_b32_e32 v67, v59, v68, vcc
	v_and_b32_e32 v68, 0xffff, v67
; %bb.69:                               ;   in Loop: Header=BB111_14 Depth=1
	s_or_b64 exec, exec, s[34:35]
	s_nop 0
	v_mov_b32_dpp v69, v68 row_shr:4 row_mask:0xf bank_mask:0xf
	s_and_saveexec_b64 s[34:35], s[26:27]
; %bb.70:                               ;   in Loop: Header=BB111_14 Depth=1
	v_lshlrev_b32_e32 v67, 16, v68
	v_lshlrev_b32_e32 v68, 16, v69
	v_add_f32_e32 v67, v68, v67
	v_bfe_u32 v68, v67, 16, 1
	v_add3_u32 v68, v67, v68, s44
	v_lshrrev_b32_e32 v68, 16, v68
	v_cmp_o_f32_e32 vcc, v67, v67
	s_nop 1
	v_cndmask_b32_e32 v67, v59, v68, vcc
; %bb.71:                               ;   in Loop: Header=BB111_14 Depth=1
	s_or_b64 exec, exec, s[34:35]
	ds_write_b16 v20, v67
.LBB111_72:                             ;   in Loop: Header=BB111_14 Depth=1
	s_or_b64 exec, exec, s[2:3]
	v_cmp_lt_i64_e32 vcc, s[38:39], v[10:11]
	s_waitcnt lgkmcnt(0)
	s_barrier
	s_waitcnt lgkmcnt(0)
                                        ; implicit-def: $vgpr67
	s_and_saveexec_b64 s[34:35], s[36:37]
	s_cbranch_execz .LBB111_74
; %bb.73:                               ;   in Loop: Header=BB111_14 Depth=1
	ds_read_u16 v67, v56
	v_lshlrev_b32_e32 v66, 16, v66
	s_waitcnt lgkmcnt(0)
	v_lshlrev_b32_e32 v68, 16, v67
	v_add_f32_e32 v66, v68, v66
	v_bfe_u32 v68, v66, 16, 1
	v_add3_u32 v68, v66, v68, s44
	v_lshrrev_b32_e32 v68, 16, v68
	v_cmp_o_f32_e64 s[2:3], v66, v66
	s_nop 1
	v_cndmask_b32_e64 v66, v59, v68, s[2:3]
.LBB111_74:                             ;   in Loop: Header=BB111_14 Depth=1
	s_or_b64 exec, exec, s[34:35]
	v_and_b32_e32 v66, 0xffff, v66
	ds_bpermute_b32 v66, v57, v66
	s_and_saveexec_b64 s[2:3], s[4:5]
	s_cbranch_execz .LBB111_78
; %bb.75:                               ;   in Loop: Header=BB111_14 Depth=1
	ds_read_u16 v68, v9 offset:14
	v_lshlrev_b32_e32 v69, 16, v21
	s_waitcnt lgkmcnt(0)
	v_lshlrev_b32_e32 v68, 16, v68
	v_add_f32_e32 v68, v68, v69
	v_cmp_o_f32_e64 s[34:35], v68, v68
	s_and_saveexec_b64 s[42:43], s[28:29]
	s_cbranch_execz .LBB111_77
; %bb.76:                               ;   in Loop: Header=BB111_14 Depth=1
	ds_write_b16 v9, v21 offset:14
.LBB111_77:                             ;   in Loop: Header=BB111_14 Depth=1
	s_or_b64 exec, exec, s[42:43]
	v_bfe_u32 v21, v68, 16, 1
	v_add3_u32 v21, v68, v21, s44
	v_lshrrev_b32_e32 v21, 16, v21
	v_cndmask_b32_e64 v21, v59, v21, s[34:35]
.LBB111_78:                             ;   in Loop: Header=BB111_14 Depth=1
	s_or_b64 exec, exec, s[2:3]
	s_waitcnt lgkmcnt(0)
	s_barrier
	ds_read_u16 v68, v9 offset:14
	s_and_saveexec_b64 s[34:35], s[30:31]
; %bb.79:                               ;   in Loop: Header=BB111_14 Depth=1
	v_cndmask_b32_e64 v66, v66, v67, s[0:1]
	v_lshlrev_b32_e32 v66, 16, v66
	v_add_f32_e32 v65, v65, v66
	v_bfe_u32 v66, v65, 16, 1
	v_add3_u32 v66, v65, v66, s44
	v_and_b32_e32 v66, 0xffff0000, v66
	v_cmp_o_f32_e64 s[2:3], v65, v65
	s_nop 1
	v_cndmask_b32_e64 v65, v58, v66, s[2:3]
; %bb.80:                               ;   in Loop: Header=BB111_14 Depth=1
	s_or_b64 exec, exec, s[34:35]
	s_waitcnt lgkmcnt(0)
	v_lshlrev_b32_e32 v66, 16, v68
	v_add_f32_e32 v65, v65, v66
	v_bfe_u32 v66, v65, 16, 1
	v_add3_u32 v66, v65, v66, s44
	v_lshrrev_b32_e32 v66, 16, v66
	v_cmp_o_f32_e64 s[2:3], v65, v65
	s_and_b64 vcc, exec, vcc
	s_nop 0
	v_cndmask_b32_e64 v65, v59, v66, s[2:3]
	v_lshlrev_b32_e32 v66, 16, v65
	v_add_f32_e32 v0, v0, v66
	v_bfe_u32 v66, v0, 16, 1
	v_add3_u32 v66, v0, v66, s44
	v_lshrrev_b32_e32 v66, 16, v66
	v_cmp_o_f32_e64 s[2:3], v0, v0
	s_barrier
	s_nop 0
	v_cndmask_b32_e64 v0, v59, v66, s[2:3]
	v_lshlrev_b32_e32 v66, 16, v0
	v_add_f32_e32 v1, v1, v66
	v_bfe_u32 v66, v1, 16, 1
	v_add3_u32 v66, v1, v66, s44
	v_lshrrev_b32_e32 v66, 16, v66
	v_cmp_o_f32_e64 s[2:3], v1, v1
	s_nop 1
	v_cndmask_b32_e64 v1, v59, v66, s[2:3]
	v_lshlrev_b32_e32 v66, 16, v1
	v_add_f32_e32 v2, v2, v66
	v_bfe_u32 v66, v2, 16, 1
	v_add3_u32 v66, v2, v66, s44
	v_lshrrev_b32_e32 v66, 16, v66
	v_cmp_o_f32_e64 s[2:3], v2, v2
	;; [unrolled: 8-line block ×14, first 2 shown]
	v_perm_b32 v7, v6, v5, s45
	v_perm_b32 v6, v4, v3, s45
	v_cndmask_b32_e64 v64, v59, v64, s[2:3]
	v_perm_b32 v5, v2, v1, s45
	v_perm_b32 v4, v0, v65, s45
	;; [unrolled: 1-line block ×6, first 2 shown]
	v_lshl_add_u64 v[18:19], v[16:17], 0, v[8:9]
	s_cbranch_vccz .LBB111_103
; %bb.81:                               ;   in Loop: Header=BB111_14 Depth=1
	ds_write_b128 v54, v[4:7]
	ds_write_b128 v54, v[0:3] offset:16
	; wave barrier
	ds_read_u16 v74, v39
	ds_read_u16 v73, v40
	;; [unrolled: 1-line block ×15, first 2 shown]
	v_cmp_gt_u32_e32 vcc, s46, v22
	s_and_saveexec_b64 s[2:3], vcc
	s_cbranch_execnz .LBB111_104
; %bb.82:                               ;   in Loop: Header=BB111_14 Depth=1
	s_or_b64 exec, exec, s[2:3]
	v_cmp_gt_u32_e32 vcc, s46, v23
	s_and_saveexec_b64 s[2:3], vcc
	s_cbranch_execnz .LBB111_105
.LBB111_83:                             ;   in Loop: Header=BB111_14 Depth=1
	s_or_b64 exec, exec, s[2:3]
	v_cmp_gt_u32_e32 vcc, s46, v24
	s_and_saveexec_b64 s[2:3], vcc
	s_cbranch_execnz .LBB111_106
.LBB111_84:                             ;   in Loop: Header=BB111_14 Depth=1
	s_or_b64 exec, exec, s[2:3]
	v_cmp_gt_u32_e32 vcc, s46, v25
	s_and_saveexec_b64 s[2:3], vcc
	s_cbranch_execnz .LBB111_107
.LBB111_85:                             ;   in Loop: Header=BB111_14 Depth=1
	s_or_b64 exec, exec, s[2:3]
	v_cmp_gt_u32_e32 vcc, s46, v26
	s_and_saveexec_b64 s[2:3], vcc
	s_cbranch_execnz .LBB111_108
.LBB111_86:                             ;   in Loop: Header=BB111_14 Depth=1
	s_or_b64 exec, exec, s[2:3]
	v_cmp_gt_u32_e32 vcc, s46, v27
	s_and_saveexec_b64 s[2:3], vcc
	s_cbranch_execnz .LBB111_109
.LBB111_87:                             ;   in Loop: Header=BB111_14 Depth=1
	s_or_b64 exec, exec, s[2:3]
	v_cmp_gt_u32_e32 vcc, s46, v28
	s_and_saveexec_b64 s[2:3], vcc
	s_cbranch_execnz .LBB111_110
.LBB111_88:                             ;   in Loop: Header=BB111_14 Depth=1
	s_or_b64 exec, exec, s[2:3]
	v_cmp_gt_u32_e32 vcc, s46, v29
	s_and_saveexec_b64 s[2:3], vcc
	s_cbranch_execnz .LBB111_111
.LBB111_89:                             ;   in Loop: Header=BB111_14 Depth=1
	s_or_b64 exec, exec, s[2:3]
	v_cmp_gt_u32_e32 vcc, s46, v30
	s_and_saveexec_b64 s[2:3], vcc
	s_cbranch_execnz .LBB111_112
.LBB111_90:                             ;   in Loop: Header=BB111_14 Depth=1
	s_or_b64 exec, exec, s[2:3]
	v_cmp_gt_u32_e32 vcc, s46, v31
	s_and_saveexec_b64 s[2:3], vcc
	s_cbranch_execnz .LBB111_113
.LBB111_91:                             ;   in Loop: Header=BB111_14 Depth=1
	s_or_b64 exec, exec, s[2:3]
	v_cmp_gt_u32_e32 vcc, s46, v32
	s_and_saveexec_b64 s[2:3], vcc
	s_cbranch_execnz .LBB111_114
.LBB111_92:                             ;   in Loop: Header=BB111_14 Depth=1
	s_or_b64 exec, exec, s[2:3]
	v_cmp_gt_u32_e32 vcc, s46, v33
	s_and_saveexec_b64 s[2:3], vcc
	s_cbranch_execnz .LBB111_115
.LBB111_93:                             ;   in Loop: Header=BB111_14 Depth=1
	s_or_b64 exec, exec, s[2:3]
	v_cmp_gt_u32_e32 vcc, s46, v34
	s_and_saveexec_b64 s[2:3], vcc
	s_cbranch_execnz .LBB111_116
.LBB111_94:                             ;   in Loop: Header=BB111_14 Depth=1
	s_or_b64 exec, exec, s[2:3]
	v_cmp_gt_u32_e32 vcc, s46, v35
	s_and_saveexec_b64 s[2:3], vcc
	s_cbranch_execnz .LBB111_117
.LBB111_95:                             ;   in Loop: Header=BB111_14 Depth=1
	s_or_b64 exec, exec, s[2:3]
	v_cmp_gt_u32_e32 vcc, s46, v36
	s_and_saveexec_b64 s[2:3], vcc
	s_cbranch_execz .LBB111_97
.LBB111_96:                             ;   in Loop: Header=BB111_14 Depth=1
	s_waitcnt lgkmcnt(1)
	global_store_short v[18:19], v61, off offset:1792
.LBB111_97:                             ;   in Loop: Header=BB111_14 Depth=1
	s_or_b64 exec, exec, s[2:3]
	v_cmp_gt_u32_e64 s[2:3], s46, v37
	s_branch .LBB111_99
.LBB111_98:                             ;   in Loop: Header=BB111_14 Depth=1
	ds_write_b128 v54, v[4:7]
	ds_write_b128 v54, v[0:3] offset:16
	; wave barrier
	ds_read_u16 v0, v38
	ds_read_u16 v1, v39
	;; [unrolled: 1-line block ×8, first 2 shown]
	s_waitcnt lgkmcnt(11)
	ds_read_u16 v61, v46
	ds_read_u16 v62, v47
	ds_read_u16 v63, v48
	ds_read_u16 v64, v49
	ds_read_u16 v65, v50
	ds_read_u16 v66, v51
	ds_read_u16 v67, v52
	s_waitcnt lgkmcnt(14)
	ds_read_u16 v60, v53
	s_or_b64 s[2:3], s[2:3], exec
	global_store_short v[18:19], v0, off
	s_waitcnt lgkmcnt(14)
	global_store_short v[18:19], v1, off offset:128
	s_waitcnt lgkmcnt(13)
	global_store_short v[18:19], v2, off offset:256
	;; [unrolled: 2-line block ×14, first 2 shown]
.LBB111_99:                             ;   in Loop: Header=BB111_14 Depth=1
	s_and_saveexec_b64 s[34:35], s[2:3]
	s_cbranch_execz .LBB111_101
; %bb.100:                              ;   in Loop: Header=BB111_14 Depth=1
	s_waitcnt lgkmcnt(0)
	global_store_short v[18:19], v60, off offset:1920
.LBB111_101:                            ;   in Loop: Header=BB111_14 Depth=1
	s_or_b64 exec, exec, s[34:35]
	v_mov_b64_e32 v[0:1], 0x2001
	v_cmp_lt_i64_e32 vcc, s[38:39], v[0:1]
	s_cbranch_vccz .LBB111_13
; %bb.102:
                                        ; implicit-def: $vgpr21
                                        ; implicit-def: $sgpr38_sgpr39
                                        ; implicit-def: $sgpr33
                                        ; implicit-def: $vgpr12_vgpr13
                                        ; implicit-def: $sgpr46
                                        ; implicit-def: $vgpr16_vgpr17
	s_branch .LBB111_118
.LBB111_103:                            ;   in Loop: Header=BB111_14 Depth=1
	s_mov_b64 s[2:3], 0
                                        ; implicit-def: $vgpr60
	s_cbranch_execnz .LBB111_98
	s_branch .LBB111_99
.LBB111_104:                            ;   in Loop: Header=BB111_14 Depth=1
	ds_read_u16 v75, v38
	s_waitcnt lgkmcnt(0)
	global_store_short v[18:19], v75, off
	s_or_b64 exec, exec, s[2:3]
	v_cmp_gt_u32_e32 vcc, s46, v23
	s_and_saveexec_b64 s[2:3], vcc
	s_cbranch_execz .LBB111_83
.LBB111_105:                            ;   in Loop: Header=BB111_14 Depth=1
	s_waitcnt lgkmcnt(14)
	global_store_short v[18:19], v74, off offset:128
	s_or_b64 exec, exec, s[2:3]
	v_cmp_gt_u32_e32 vcc, s46, v24
	s_and_saveexec_b64 s[2:3], vcc
	s_cbranch_execz .LBB111_84
.LBB111_106:                            ;   in Loop: Header=BB111_14 Depth=1
	s_waitcnt lgkmcnt(13)
	global_store_short v[18:19], v73, off offset:256
	s_or_b64 exec, exec, s[2:3]
	v_cmp_gt_u32_e32 vcc, s46, v25
	s_and_saveexec_b64 s[2:3], vcc
	s_cbranch_execz .LBB111_85
.LBB111_107:                            ;   in Loop: Header=BB111_14 Depth=1
	s_waitcnt lgkmcnt(12)
	global_store_short v[18:19], v72, off offset:384
	s_or_b64 exec, exec, s[2:3]
	v_cmp_gt_u32_e32 vcc, s46, v26
	s_and_saveexec_b64 s[2:3], vcc
	s_cbranch_execz .LBB111_86
.LBB111_108:                            ;   in Loop: Header=BB111_14 Depth=1
	s_waitcnt lgkmcnt(11)
	global_store_short v[18:19], v71, off offset:512
	s_or_b64 exec, exec, s[2:3]
	v_cmp_gt_u32_e32 vcc, s46, v27
	s_and_saveexec_b64 s[2:3], vcc
	s_cbranch_execz .LBB111_87
.LBB111_109:                            ;   in Loop: Header=BB111_14 Depth=1
	s_waitcnt lgkmcnt(10)
	global_store_short v[18:19], v70, off offset:640
	s_or_b64 exec, exec, s[2:3]
	v_cmp_gt_u32_e32 vcc, s46, v28
	s_and_saveexec_b64 s[2:3], vcc
	s_cbranch_execz .LBB111_88
.LBB111_110:                            ;   in Loop: Header=BB111_14 Depth=1
	s_waitcnt lgkmcnt(9)
	global_store_short v[18:19], v69, off offset:768
	s_or_b64 exec, exec, s[2:3]
	v_cmp_gt_u32_e32 vcc, s46, v29
	s_and_saveexec_b64 s[2:3], vcc
	s_cbranch_execz .LBB111_89
.LBB111_111:                            ;   in Loop: Header=BB111_14 Depth=1
	s_waitcnt lgkmcnt(8)
	global_store_short v[18:19], v68, off offset:896
	s_or_b64 exec, exec, s[2:3]
	v_cmp_gt_u32_e32 vcc, s46, v30
	s_and_saveexec_b64 s[2:3], vcc
	s_cbranch_execz .LBB111_90
.LBB111_112:                            ;   in Loop: Header=BB111_14 Depth=1
	s_waitcnt lgkmcnt(7)
	global_store_short v[18:19], v67, off offset:1024
	s_or_b64 exec, exec, s[2:3]
	v_cmp_gt_u32_e32 vcc, s46, v31
	s_and_saveexec_b64 s[2:3], vcc
	s_cbranch_execz .LBB111_91
.LBB111_113:                            ;   in Loop: Header=BB111_14 Depth=1
	s_waitcnt lgkmcnt(6)
	global_store_short v[18:19], v66, off offset:1152
	s_or_b64 exec, exec, s[2:3]
	v_cmp_gt_u32_e32 vcc, s46, v32
	s_and_saveexec_b64 s[2:3], vcc
	s_cbranch_execz .LBB111_92
.LBB111_114:                            ;   in Loop: Header=BB111_14 Depth=1
	s_waitcnt lgkmcnt(5)
	global_store_short v[18:19], v65, off offset:1280
	s_or_b64 exec, exec, s[2:3]
	v_cmp_gt_u32_e32 vcc, s46, v33
	s_and_saveexec_b64 s[2:3], vcc
	s_cbranch_execz .LBB111_93
.LBB111_115:                            ;   in Loop: Header=BB111_14 Depth=1
	s_waitcnt lgkmcnt(4)
	global_store_short v[18:19], v64, off offset:1408
	s_or_b64 exec, exec, s[2:3]
	v_cmp_gt_u32_e32 vcc, s46, v34
	s_and_saveexec_b64 s[2:3], vcc
	s_cbranch_execz .LBB111_94
.LBB111_116:                            ;   in Loop: Header=BB111_14 Depth=1
	s_waitcnt lgkmcnt(3)
	global_store_short v[18:19], v63, off offset:1536
	s_or_b64 exec, exec, s[2:3]
	v_cmp_gt_u32_e32 vcc, s46, v35
	s_and_saveexec_b64 s[2:3], vcc
	s_cbranch_execz .LBB111_95
.LBB111_117:                            ;   in Loop: Header=BB111_14 Depth=1
	s_waitcnt lgkmcnt(2)
	global_store_short v[18:19], v62, off offset:1664
	s_or_b64 exec, exec, s[2:3]
	v_cmp_gt_u32_e32 vcc, s46, v36
	s_and_saveexec_b64 s[2:3], vcc
	s_cbranch_execnz .LBB111_96
	s_branch .LBB111_97
.LBB111_118:
	s_endpgm
	.section	.rodata,"a",@progbits
	.p2align	6, 0x0
	.amdhsa_kernel _ZN2at4cuda3cub17final_scan_kernelILi512ELi16EN3c108BFloat16EEEvPKT1_PS5_S8_li
		.amdhsa_group_segment_fixed_size 16896
		.amdhsa_private_segment_fixed_size 0
		.amdhsa_kernarg_size 296
		.amdhsa_user_sgpr_count 2
		.amdhsa_user_sgpr_dispatch_ptr 0
		.amdhsa_user_sgpr_queue_ptr 0
		.amdhsa_user_sgpr_kernarg_segment_ptr 1
		.amdhsa_user_sgpr_dispatch_id 0
		.amdhsa_user_sgpr_kernarg_preload_length 0
		.amdhsa_user_sgpr_kernarg_preload_offset 0
		.amdhsa_user_sgpr_private_segment_size 0
		.amdhsa_uses_dynamic_stack 0
		.amdhsa_enable_private_segment 0
		.amdhsa_system_sgpr_workgroup_id_x 1
		.amdhsa_system_sgpr_workgroup_id_y 0
		.amdhsa_system_sgpr_workgroup_id_z 0
		.amdhsa_system_sgpr_workgroup_info 0
		.amdhsa_system_vgpr_workitem_id 0
		.amdhsa_next_free_vgpr 76
		.amdhsa_next_free_sgpr 48
		.amdhsa_accum_offset 76
		.amdhsa_reserve_vcc 1
		.amdhsa_float_round_mode_32 0
		.amdhsa_float_round_mode_16_64 0
		.amdhsa_float_denorm_mode_32 3
		.amdhsa_float_denorm_mode_16_64 3
		.amdhsa_dx10_clamp 1
		.amdhsa_ieee_mode 1
		.amdhsa_fp16_overflow 0
		.amdhsa_tg_split 0
		.amdhsa_exception_fp_ieee_invalid_op 0
		.amdhsa_exception_fp_denorm_src 0
		.amdhsa_exception_fp_ieee_div_zero 0
		.amdhsa_exception_fp_ieee_overflow 0
		.amdhsa_exception_fp_ieee_underflow 0
		.amdhsa_exception_fp_ieee_inexact 0
		.amdhsa_exception_int_div_zero 0
	.end_amdhsa_kernel
	.section	.text._ZN2at4cuda3cub17final_scan_kernelILi512ELi16EN3c108BFloat16EEEvPKT1_PS5_S8_li,"axG",@progbits,_ZN2at4cuda3cub17final_scan_kernelILi512ELi16EN3c108BFloat16EEEvPKT1_PS5_S8_li,comdat
.Lfunc_end111:
	.size	_ZN2at4cuda3cub17final_scan_kernelILi512ELi16EN3c108BFloat16EEEvPKT1_PS5_S8_li, .Lfunc_end111-_ZN2at4cuda3cub17final_scan_kernelILi512ELi16EN3c108BFloat16EEEvPKT1_PS5_S8_li
                                        ; -- End function
	.section	.AMDGPU.csdata,"",@progbits
; Kernel info:
; codeLenInByte = 6528
; NumSgprs: 54
; NumVgprs: 76
; NumAgprs: 0
; TotalNumVgprs: 76
; ScratchSize: 0
; MemoryBound: 0
; FloatMode: 240
; IeeeMode: 1
; LDSByteSize: 16896 bytes/workgroup (compile time only)
; SGPRBlocks: 6
; VGPRBlocks: 9
; NumSGPRsForWavesPerEU: 54
; NumVGPRsForWavesPerEU: 76
; AccumOffset: 76
; Occupancy: 6
; WaveLimiterHint : 1
; COMPUTE_PGM_RSRC2:SCRATCH_EN: 0
; COMPUTE_PGM_RSRC2:USER_SGPR: 2
; COMPUTE_PGM_RSRC2:TRAP_HANDLER: 0
; COMPUTE_PGM_RSRC2:TGID_X_EN: 1
; COMPUTE_PGM_RSRC2:TGID_Y_EN: 0
; COMPUTE_PGM_RSRC2:TGID_Z_EN: 0
; COMPUTE_PGM_RSRC2:TIDIG_COMP_CNT: 0
; COMPUTE_PGM_RSRC3_GFX90A:ACCUM_OFFSET: 18
; COMPUTE_PGM_RSRC3_GFX90A:TG_SPLIT: 0
	.section	.text._ZN7rocprim17ROCPRIM_304000_NS6detail31init_lookback_scan_state_kernelINS1_19lookback_scan_stateIN3c108BFloat16ELb1ELb1EEEEEvT_jjPNS7_10value_typeE,"axG",@progbits,_ZN7rocprim17ROCPRIM_304000_NS6detail31init_lookback_scan_state_kernelINS1_19lookback_scan_stateIN3c108BFloat16ELb1ELb1EEEEEvT_jjPNS7_10value_typeE,comdat
	.protected	_ZN7rocprim17ROCPRIM_304000_NS6detail31init_lookback_scan_state_kernelINS1_19lookback_scan_stateIN3c108BFloat16ELb1ELb1EEEEEvT_jjPNS7_10value_typeE ; -- Begin function _ZN7rocprim17ROCPRIM_304000_NS6detail31init_lookback_scan_state_kernelINS1_19lookback_scan_stateIN3c108BFloat16ELb1ELb1EEEEEvT_jjPNS7_10value_typeE
	.globl	_ZN7rocprim17ROCPRIM_304000_NS6detail31init_lookback_scan_state_kernelINS1_19lookback_scan_stateIN3c108BFloat16ELb1ELb1EEEEEvT_jjPNS7_10value_typeE
	.p2align	8
	.type	_ZN7rocprim17ROCPRIM_304000_NS6detail31init_lookback_scan_state_kernelINS1_19lookback_scan_stateIN3c108BFloat16ELb1ELb1EEEEEvT_jjPNS7_10value_typeE,@function
_ZN7rocprim17ROCPRIM_304000_NS6detail31init_lookback_scan_state_kernelINS1_19lookback_scan_stateIN3c108BFloat16ELb1ELb1EEEEEvT_jjPNS7_10value_typeE: ; @_ZN7rocprim17ROCPRIM_304000_NS6detail31init_lookback_scan_state_kernelINS1_19lookback_scan_stateIN3c108BFloat16ELb1ELb1EEEEEvT_jjPNS7_10value_typeE
; %bb.0:
	s_load_dword s3, s[0:1], 0x24
	s_load_dwordx2 s[8:9], s[0:1], 0x10
	s_load_dwordx4 s[4:7], s[0:1], 0x0
	s_waitcnt lgkmcnt(0)
	s_and_b32 s0, s3, 0xffff
	s_mul_i32 s2, s2, s0
	s_cmp_eq_u64 s[8:9], 0
	v_add_u32_e32 v0, s2, v0
	s_cbranch_scc1 .LBB112_9
; %bb.1:
	s_cmp_lt_u32 s7, s6
	s_cselect_b32 s0, s7, 0
	s_mov_b32 s3, 0
	v_cmp_eq_u32_e32 vcc, s0, v0
	s_and_saveexec_b64 s[0:1], vcc
	s_cbranch_execz .LBB112_8
; %bb.2:
	s_add_i32 s2, s7, 64
	s_lshl_b64 s[2:3], s[2:3], 2
	s_add_u32 s2, s4, s2
	s_addc_u32 s3, s5, s3
	v_mov_b32_e32 v1, 0
	global_load_dword v2, v1, s[2:3] sc1
	s_waitcnt vmcnt(0)
	v_and_b32_e32 v3, 0xff0000, v2
	v_cmp_ne_u32_e32 vcc, 0, v3
	s_cbranch_vccnz .LBB112_7
; %bb.3:
	s_mov_b32 s7, 1
.LBB112_4:                              ; =>This Loop Header: Depth=1
                                        ;     Child Loop BB112_5 Depth 2
	s_max_u32 s10, s7, 1
.LBB112_5:                              ;   Parent Loop BB112_4 Depth=1
                                        ; =>  This Inner Loop Header: Depth=2
	s_add_i32 s10, s10, -1
	s_cmp_eq_u32 s10, 0
	s_sleep 1
	s_cbranch_scc0 .LBB112_5
; %bb.6:                                ;   in Loop: Header=BB112_4 Depth=1
	global_load_dword v2, v1, s[2:3] sc1
	s_cmp_lt_u32 s7, 32
	s_cselect_b64 s[10:11], -1, 0
	s_cmp_lg_u64 s[10:11], 0
	s_addc_u32 s7, s7, 0
	s_waitcnt vmcnt(0)
	v_and_b32_e32 v3, 0xff0000, v2
	v_cmp_ne_u32_e32 vcc, 0, v3
	s_cbranch_vccz .LBB112_4
.LBB112_7:
	v_mov_b32_e32 v1, 0
	global_store_short v1, v2, s[8:9]
.LBB112_8:
	s_or_b64 exec, exec, s[0:1]
.LBB112_9:
	v_cmp_gt_u32_e32 vcc, s6, v0
	s_and_saveexec_b64 s[0:1], vcc
	s_cbranch_execnz .LBB112_12
; %bb.10:
	s_or_b64 exec, exec, s[0:1]
	v_cmp_gt_u32_e32 vcc, 64, v0
	s_and_saveexec_b64 s[0:1], vcc
	s_cbranch_execnz .LBB112_13
.LBB112_11:
	s_endpgm
.LBB112_12:
	v_add_u32_e32 v2, 64, v0
	v_mov_b32_e32 v3, 0
	v_lshl_add_u64 v[4:5], v[2:3], 2, s[4:5]
	global_store_dword v[4:5], v3, off
	s_or_b64 exec, exec, s[0:1]
	v_cmp_gt_u32_e32 vcc, 64, v0
	s_and_saveexec_b64 s[0:1], vcc
	s_cbranch_execz .LBB112_11
.LBB112_13:
	v_mov_b32_e32 v1, 0
	v_lshl_add_u64 v[0:1], v[0:1], 2, s[4:5]
	v_mov_b32_e32 v2, 0xff0000
	global_store_dword v[0:1], v2, off
	s_endpgm
	.section	.rodata,"a",@progbits
	.p2align	6, 0x0
	.amdhsa_kernel _ZN7rocprim17ROCPRIM_304000_NS6detail31init_lookback_scan_state_kernelINS1_19lookback_scan_stateIN3c108BFloat16ELb1ELb1EEEEEvT_jjPNS7_10value_typeE
		.amdhsa_group_segment_fixed_size 0
		.amdhsa_private_segment_fixed_size 0
		.amdhsa_kernarg_size 280
		.amdhsa_user_sgpr_count 2
		.amdhsa_user_sgpr_dispatch_ptr 0
		.amdhsa_user_sgpr_queue_ptr 0
		.amdhsa_user_sgpr_kernarg_segment_ptr 1
		.amdhsa_user_sgpr_dispatch_id 0
		.amdhsa_user_sgpr_kernarg_preload_length 0
		.amdhsa_user_sgpr_kernarg_preload_offset 0
		.amdhsa_user_sgpr_private_segment_size 0
		.amdhsa_uses_dynamic_stack 0
		.amdhsa_enable_private_segment 0
		.amdhsa_system_sgpr_workgroup_id_x 1
		.amdhsa_system_sgpr_workgroup_id_y 0
		.amdhsa_system_sgpr_workgroup_id_z 0
		.amdhsa_system_sgpr_workgroup_info 0
		.amdhsa_system_vgpr_workitem_id 0
		.amdhsa_next_free_vgpr 6
		.amdhsa_next_free_sgpr 12
		.amdhsa_accum_offset 8
		.amdhsa_reserve_vcc 1
		.amdhsa_float_round_mode_32 0
		.amdhsa_float_round_mode_16_64 0
		.amdhsa_float_denorm_mode_32 3
		.amdhsa_float_denorm_mode_16_64 3
		.amdhsa_dx10_clamp 1
		.amdhsa_ieee_mode 1
		.amdhsa_fp16_overflow 0
		.amdhsa_tg_split 0
		.amdhsa_exception_fp_ieee_invalid_op 0
		.amdhsa_exception_fp_denorm_src 0
		.amdhsa_exception_fp_ieee_div_zero 0
		.amdhsa_exception_fp_ieee_overflow 0
		.amdhsa_exception_fp_ieee_underflow 0
		.amdhsa_exception_fp_ieee_inexact 0
		.amdhsa_exception_int_div_zero 0
	.end_amdhsa_kernel
	.section	.text._ZN7rocprim17ROCPRIM_304000_NS6detail31init_lookback_scan_state_kernelINS1_19lookback_scan_stateIN3c108BFloat16ELb1ELb1EEEEEvT_jjPNS7_10value_typeE,"axG",@progbits,_ZN7rocprim17ROCPRIM_304000_NS6detail31init_lookback_scan_state_kernelINS1_19lookback_scan_stateIN3c108BFloat16ELb1ELb1EEEEEvT_jjPNS7_10value_typeE,comdat
.Lfunc_end112:
	.size	_ZN7rocprim17ROCPRIM_304000_NS6detail31init_lookback_scan_state_kernelINS1_19lookback_scan_stateIN3c108BFloat16ELb1ELb1EEEEEvT_jjPNS7_10value_typeE, .Lfunc_end112-_ZN7rocprim17ROCPRIM_304000_NS6detail31init_lookback_scan_state_kernelINS1_19lookback_scan_stateIN3c108BFloat16ELb1ELb1EEEEEvT_jjPNS7_10value_typeE
                                        ; -- End function
	.section	.AMDGPU.csdata,"",@progbits
; Kernel info:
; codeLenInByte = 312
; NumSgprs: 18
; NumVgprs: 6
; NumAgprs: 0
; TotalNumVgprs: 6
; ScratchSize: 0
; MemoryBound: 0
; FloatMode: 240
; IeeeMode: 1
; LDSByteSize: 0 bytes/workgroup (compile time only)
; SGPRBlocks: 2
; VGPRBlocks: 0
; NumSGPRsForWavesPerEU: 18
; NumVGPRsForWavesPerEU: 6
; AccumOffset: 8
; Occupancy: 8
; WaveLimiterHint : 0
; COMPUTE_PGM_RSRC2:SCRATCH_EN: 0
; COMPUTE_PGM_RSRC2:USER_SGPR: 2
; COMPUTE_PGM_RSRC2:TRAP_HANDLER: 0
; COMPUTE_PGM_RSRC2:TGID_X_EN: 1
; COMPUTE_PGM_RSRC2:TGID_Y_EN: 0
; COMPUTE_PGM_RSRC2:TGID_Z_EN: 0
; COMPUTE_PGM_RSRC2:TIDIG_COMP_CNT: 0
; COMPUTE_PGM_RSRC3_GFX90A:ACCUM_OFFSET: 1
; COMPUTE_PGM_RSRC3_GFX90A:TG_SPLIT: 0
	.section	.text._ZN7rocprim17ROCPRIM_304000_NS6detail31init_lookback_scan_state_kernelINS1_19lookback_scan_stateIN3c108BFloat16ELb0ELb1EEEEEvT_jjPNS7_10value_typeE,"axG",@progbits,_ZN7rocprim17ROCPRIM_304000_NS6detail31init_lookback_scan_state_kernelINS1_19lookback_scan_stateIN3c108BFloat16ELb0ELb1EEEEEvT_jjPNS7_10value_typeE,comdat
	.protected	_ZN7rocprim17ROCPRIM_304000_NS6detail31init_lookback_scan_state_kernelINS1_19lookback_scan_stateIN3c108BFloat16ELb0ELb1EEEEEvT_jjPNS7_10value_typeE ; -- Begin function _ZN7rocprim17ROCPRIM_304000_NS6detail31init_lookback_scan_state_kernelINS1_19lookback_scan_stateIN3c108BFloat16ELb0ELb1EEEEEvT_jjPNS7_10value_typeE
	.globl	_ZN7rocprim17ROCPRIM_304000_NS6detail31init_lookback_scan_state_kernelINS1_19lookback_scan_stateIN3c108BFloat16ELb0ELb1EEEEEvT_jjPNS7_10value_typeE
	.p2align	8
	.type	_ZN7rocprim17ROCPRIM_304000_NS6detail31init_lookback_scan_state_kernelINS1_19lookback_scan_stateIN3c108BFloat16ELb0ELb1EEEEEvT_jjPNS7_10value_typeE,@function
_ZN7rocprim17ROCPRIM_304000_NS6detail31init_lookback_scan_state_kernelINS1_19lookback_scan_stateIN3c108BFloat16ELb0ELb1EEEEEvT_jjPNS7_10value_typeE: ; @_ZN7rocprim17ROCPRIM_304000_NS6detail31init_lookback_scan_state_kernelINS1_19lookback_scan_stateIN3c108BFloat16ELb0ELb1EEEEEvT_jjPNS7_10value_typeE
; %bb.0:
	s_load_dword s3, s[0:1], 0x24
	s_load_dwordx2 s[8:9], s[0:1], 0x10
	s_load_dwordx4 s[4:7], s[0:1], 0x0
	s_waitcnt lgkmcnt(0)
	s_and_b32 s0, s3, 0xffff
	s_mul_i32 s2, s2, s0
	s_cmp_eq_u64 s[8:9], 0
	v_add_u32_e32 v0, s2, v0
	s_cbranch_scc1 .LBB113_6
; %bb.1:
	s_cmp_lt_u32 s7, s6
	s_cselect_b32 s0, s7, 0
	s_mov_b32 s3, 0
	v_cmp_eq_u32_e32 vcc, s0, v0
	s_and_saveexec_b64 s[0:1], vcc
	s_cbranch_execz .LBB113_5
; %bb.2:
	s_add_i32 s2, s7, 64
	s_lshl_b64 s[2:3], s[2:3], 2
	s_add_u32 s2, s4, s2
	s_addc_u32 s3, s5, s3
	v_mov_b32_e32 v2, 0
	global_load_dword v1, v2, s[2:3] sc1
	s_waitcnt vmcnt(0)
	v_and_b32_e32 v3, 0xff0000, v1
	v_cmp_ne_u32_e32 vcc, 0, v3
	s_cbranch_vccnz .LBB113_4
.LBB113_3:                              ; =>This Inner Loop Header: Depth=1
	global_load_dword v1, v2, s[2:3] sc1
	s_waitcnt vmcnt(0)
	v_and_b32_e32 v3, 0xff0000, v1
	v_cmp_eq_u32_e32 vcc, 0, v3
	s_cbranch_vccnz .LBB113_3
.LBB113_4:
	v_mov_b32_e32 v2, 0
	global_store_short v2, v1, s[8:9]
.LBB113_5:
	s_or_b64 exec, exec, s[0:1]
.LBB113_6:
	v_cmp_gt_u32_e32 vcc, s6, v0
	s_and_saveexec_b64 s[0:1], vcc
	s_cbranch_execnz .LBB113_9
; %bb.7:
	s_or_b64 exec, exec, s[0:1]
	v_cmp_gt_u32_e32 vcc, 64, v0
	s_and_saveexec_b64 s[0:1], vcc
	s_cbranch_execnz .LBB113_10
.LBB113_8:
	s_endpgm
.LBB113_9:
	v_add_u32_e32 v2, 64, v0
	v_mov_b32_e32 v3, 0
	v_lshl_add_u64 v[4:5], v[2:3], 2, s[4:5]
	global_store_dword v[4:5], v3, off
	s_or_b64 exec, exec, s[0:1]
	v_cmp_gt_u32_e32 vcc, 64, v0
	s_and_saveexec_b64 s[0:1], vcc
	s_cbranch_execz .LBB113_8
.LBB113_10:
	v_mov_b32_e32 v1, 0
	v_lshl_add_u64 v[0:1], v[0:1], 2, s[4:5]
	v_mov_b32_e32 v2, 0xff0000
	global_store_dword v[0:1], v2, off
	s_endpgm
	.section	.rodata,"a",@progbits
	.p2align	6, 0x0
	.amdhsa_kernel _ZN7rocprim17ROCPRIM_304000_NS6detail31init_lookback_scan_state_kernelINS1_19lookback_scan_stateIN3c108BFloat16ELb0ELb1EEEEEvT_jjPNS7_10value_typeE
		.amdhsa_group_segment_fixed_size 0
		.amdhsa_private_segment_fixed_size 0
		.amdhsa_kernarg_size 280
		.amdhsa_user_sgpr_count 2
		.amdhsa_user_sgpr_dispatch_ptr 0
		.amdhsa_user_sgpr_queue_ptr 0
		.amdhsa_user_sgpr_kernarg_segment_ptr 1
		.amdhsa_user_sgpr_dispatch_id 0
		.amdhsa_user_sgpr_kernarg_preload_length 0
		.amdhsa_user_sgpr_kernarg_preload_offset 0
		.amdhsa_user_sgpr_private_segment_size 0
		.amdhsa_uses_dynamic_stack 0
		.amdhsa_enable_private_segment 0
		.amdhsa_system_sgpr_workgroup_id_x 1
		.amdhsa_system_sgpr_workgroup_id_y 0
		.amdhsa_system_sgpr_workgroup_id_z 0
		.amdhsa_system_sgpr_workgroup_info 0
		.amdhsa_system_vgpr_workitem_id 0
		.amdhsa_next_free_vgpr 6
		.amdhsa_next_free_sgpr 10
		.amdhsa_accum_offset 8
		.amdhsa_reserve_vcc 1
		.amdhsa_float_round_mode_32 0
		.amdhsa_float_round_mode_16_64 0
		.amdhsa_float_denorm_mode_32 3
		.amdhsa_float_denorm_mode_16_64 3
		.amdhsa_dx10_clamp 1
		.amdhsa_ieee_mode 1
		.amdhsa_fp16_overflow 0
		.amdhsa_tg_split 0
		.amdhsa_exception_fp_ieee_invalid_op 0
		.amdhsa_exception_fp_denorm_src 0
		.amdhsa_exception_fp_ieee_div_zero 0
		.amdhsa_exception_fp_ieee_overflow 0
		.amdhsa_exception_fp_ieee_underflow 0
		.amdhsa_exception_fp_ieee_inexact 0
		.amdhsa_exception_int_div_zero 0
	.end_amdhsa_kernel
	.section	.text._ZN7rocprim17ROCPRIM_304000_NS6detail31init_lookback_scan_state_kernelINS1_19lookback_scan_stateIN3c108BFloat16ELb0ELb1EEEEEvT_jjPNS7_10value_typeE,"axG",@progbits,_ZN7rocprim17ROCPRIM_304000_NS6detail31init_lookback_scan_state_kernelINS1_19lookback_scan_stateIN3c108BFloat16ELb0ELb1EEEEEvT_jjPNS7_10value_typeE,comdat
.Lfunc_end113:
	.size	_ZN7rocprim17ROCPRIM_304000_NS6detail31init_lookback_scan_state_kernelINS1_19lookback_scan_stateIN3c108BFloat16ELb0ELb1EEEEEvT_jjPNS7_10value_typeE, .Lfunc_end113-_ZN7rocprim17ROCPRIM_304000_NS6detail31init_lookback_scan_state_kernelINS1_19lookback_scan_stateIN3c108BFloat16ELb0ELb1EEEEEvT_jjPNS7_10value_typeE
                                        ; -- End function
	.section	.AMDGPU.csdata,"",@progbits
; Kernel info:
; codeLenInByte = 272
; NumSgprs: 16
; NumVgprs: 6
; NumAgprs: 0
; TotalNumVgprs: 6
; ScratchSize: 0
; MemoryBound: 0
; FloatMode: 240
; IeeeMode: 1
; LDSByteSize: 0 bytes/workgroup (compile time only)
; SGPRBlocks: 1
; VGPRBlocks: 0
; NumSGPRsForWavesPerEU: 16
; NumVGPRsForWavesPerEU: 6
; AccumOffset: 8
; Occupancy: 8
; WaveLimiterHint : 0
; COMPUTE_PGM_RSRC2:SCRATCH_EN: 0
; COMPUTE_PGM_RSRC2:USER_SGPR: 2
; COMPUTE_PGM_RSRC2:TRAP_HANDLER: 0
; COMPUTE_PGM_RSRC2:TGID_X_EN: 1
; COMPUTE_PGM_RSRC2:TGID_Y_EN: 0
; COMPUTE_PGM_RSRC2:TGID_Z_EN: 0
; COMPUTE_PGM_RSRC2:TIDIG_COMP_CNT: 0
; COMPUTE_PGM_RSRC3_GFX90A:ACCUM_OFFSET: 1
; COMPUTE_PGM_RSRC3_GFX90A:TG_SPLIT: 0
	.section	.text._ZN7rocprim17ROCPRIM_304000_NS6detail20lookback_scan_kernelILNS1_25lookback_scan_determinismE0ELb0ENS1_19wrapped_scan_configINS0_14default_configEN3c108BFloat16EEEPKS7_PS7_St4plusIS7_ES7_S7_NS1_19lookback_scan_stateIS7_Lb1ELb1EEEEEvT2_T3_mT5_T4_T7_jPT6_SM_bb,"axG",@progbits,_ZN7rocprim17ROCPRIM_304000_NS6detail20lookback_scan_kernelILNS1_25lookback_scan_determinismE0ELb0ENS1_19wrapped_scan_configINS0_14default_configEN3c108BFloat16EEEPKS7_PS7_St4plusIS7_ES7_S7_NS1_19lookback_scan_stateIS7_Lb1ELb1EEEEEvT2_T3_mT5_T4_T7_jPT6_SM_bb,comdat
	.protected	_ZN7rocprim17ROCPRIM_304000_NS6detail20lookback_scan_kernelILNS1_25lookback_scan_determinismE0ELb0ENS1_19wrapped_scan_configINS0_14default_configEN3c108BFloat16EEEPKS7_PS7_St4plusIS7_ES7_S7_NS1_19lookback_scan_stateIS7_Lb1ELb1EEEEEvT2_T3_mT5_T4_T7_jPT6_SM_bb ; -- Begin function _ZN7rocprim17ROCPRIM_304000_NS6detail20lookback_scan_kernelILNS1_25lookback_scan_determinismE0ELb0ENS1_19wrapped_scan_configINS0_14default_configEN3c108BFloat16EEEPKS7_PS7_St4plusIS7_ES7_S7_NS1_19lookback_scan_stateIS7_Lb1ELb1EEEEEvT2_T3_mT5_T4_T7_jPT6_SM_bb
	.globl	_ZN7rocprim17ROCPRIM_304000_NS6detail20lookback_scan_kernelILNS1_25lookback_scan_determinismE0ELb0ENS1_19wrapped_scan_configINS0_14default_configEN3c108BFloat16EEEPKS7_PS7_St4plusIS7_ES7_S7_NS1_19lookback_scan_stateIS7_Lb1ELb1EEEEEvT2_T3_mT5_T4_T7_jPT6_SM_bb
	.p2align	8
	.type	_ZN7rocprim17ROCPRIM_304000_NS6detail20lookback_scan_kernelILNS1_25lookback_scan_determinismE0ELb0ENS1_19wrapped_scan_configINS0_14default_configEN3c108BFloat16EEEPKS7_PS7_St4plusIS7_ES7_S7_NS1_19lookback_scan_stateIS7_Lb1ELb1EEEEEvT2_T3_mT5_T4_T7_jPT6_SM_bb,@function
_ZN7rocprim17ROCPRIM_304000_NS6detail20lookback_scan_kernelILNS1_25lookback_scan_determinismE0ELb0ENS1_19wrapped_scan_configINS0_14default_configEN3c108BFloat16EEEPKS7_PS7_St4plusIS7_ES7_S7_NS1_19lookback_scan_stateIS7_Lb1ELb1EEEEEvT2_T3_mT5_T4_T7_jPT6_SM_bb: ; @_ZN7rocprim17ROCPRIM_304000_NS6detail20lookback_scan_kernelILNS1_25lookback_scan_determinismE0ELb0ENS1_19wrapped_scan_configINS0_14default_configEN3c108BFloat16EEEPKS7_PS7_St4plusIS7_ES7_S7_NS1_19lookback_scan_stateIS7_Lb1ELb1EEEEEvT2_T3_mT5_T4_T7_jPT6_SM_bb
; %bb.0:
	s_endpgm
	.section	.rodata,"a",@progbits
	.p2align	6, 0x0
	.amdhsa_kernel _ZN7rocprim17ROCPRIM_304000_NS6detail20lookback_scan_kernelILNS1_25lookback_scan_determinismE0ELb0ENS1_19wrapped_scan_configINS0_14default_configEN3c108BFloat16EEEPKS7_PS7_St4plusIS7_ES7_S7_NS1_19lookback_scan_stateIS7_Lb1ELb1EEEEEvT2_T3_mT5_T4_T7_jPT6_SM_bb
		.amdhsa_group_segment_fixed_size 0
		.amdhsa_private_segment_fixed_size 0
		.amdhsa_kernarg_size 68
		.amdhsa_user_sgpr_count 2
		.amdhsa_user_sgpr_dispatch_ptr 0
		.amdhsa_user_sgpr_queue_ptr 0
		.amdhsa_user_sgpr_kernarg_segment_ptr 1
		.amdhsa_user_sgpr_dispatch_id 0
		.amdhsa_user_sgpr_kernarg_preload_length 0
		.amdhsa_user_sgpr_kernarg_preload_offset 0
		.amdhsa_user_sgpr_private_segment_size 0
		.amdhsa_uses_dynamic_stack 0
		.amdhsa_enable_private_segment 0
		.amdhsa_system_sgpr_workgroup_id_x 1
		.amdhsa_system_sgpr_workgroup_id_y 0
		.amdhsa_system_sgpr_workgroup_id_z 0
		.amdhsa_system_sgpr_workgroup_info 0
		.amdhsa_system_vgpr_workitem_id 0
		.amdhsa_next_free_vgpr 1
		.amdhsa_next_free_sgpr 0
		.amdhsa_accum_offset 4
		.amdhsa_reserve_vcc 0
		.amdhsa_float_round_mode_32 0
		.amdhsa_float_round_mode_16_64 0
		.amdhsa_float_denorm_mode_32 3
		.amdhsa_float_denorm_mode_16_64 3
		.amdhsa_dx10_clamp 1
		.amdhsa_ieee_mode 1
		.amdhsa_fp16_overflow 0
		.amdhsa_tg_split 0
		.amdhsa_exception_fp_ieee_invalid_op 0
		.amdhsa_exception_fp_denorm_src 0
		.amdhsa_exception_fp_ieee_div_zero 0
		.amdhsa_exception_fp_ieee_overflow 0
		.amdhsa_exception_fp_ieee_underflow 0
		.amdhsa_exception_fp_ieee_inexact 0
		.amdhsa_exception_int_div_zero 0
	.end_amdhsa_kernel
	.section	.text._ZN7rocprim17ROCPRIM_304000_NS6detail20lookback_scan_kernelILNS1_25lookback_scan_determinismE0ELb0ENS1_19wrapped_scan_configINS0_14default_configEN3c108BFloat16EEEPKS7_PS7_St4plusIS7_ES7_S7_NS1_19lookback_scan_stateIS7_Lb1ELb1EEEEEvT2_T3_mT5_T4_T7_jPT6_SM_bb,"axG",@progbits,_ZN7rocprim17ROCPRIM_304000_NS6detail20lookback_scan_kernelILNS1_25lookback_scan_determinismE0ELb0ENS1_19wrapped_scan_configINS0_14default_configEN3c108BFloat16EEEPKS7_PS7_St4plusIS7_ES7_S7_NS1_19lookback_scan_stateIS7_Lb1ELb1EEEEEvT2_T3_mT5_T4_T7_jPT6_SM_bb,comdat
.Lfunc_end114:
	.size	_ZN7rocprim17ROCPRIM_304000_NS6detail20lookback_scan_kernelILNS1_25lookback_scan_determinismE0ELb0ENS1_19wrapped_scan_configINS0_14default_configEN3c108BFloat16EEEPKS7_PS7_St4plusIS7_ES7_S7_NS1_19lookback_scan_stateIS7_Lb1ELb1EEEEEvT2_T3_mT5_T4_T7_jPT6_SM_bb, .Lfunc_end114-_ZN7rocprim17ROCPRIM_304000_NS6detail20lookback_scan_kernelILNS1_25lookback_scan_determinismE0ELb0ENS1_19wrapped_scan_configINS0_14default_configEN3c108BFloat16EEEPKS7_PS7_St4plusIS7_ES7_S7_NS1_19lookback_scan_stateIS7_Lb1ELb1EEEEEvT2_T3_mT5_T4_T7_jPT6_SM_bb
                                        ; -- End function
	.section	.AMDGPU.csdata,"",@progbits
; Kernel info:
; codeLenInByte = 4
; NumSgprs: 6
; NumVgprs: 0
; NumAgprs: 0
; TotalNumVgprs: 0
; ScratchSize: 0
; MemoryBound: 0
; FloatMode: 240
; IeeeMode: 1
; LDSByteSize: 0 bytes/workgroup (compile time only)
; SGPRBlocks: 0
; VGPRBlocks: 0
; NumSGPRsForWavesPerEU: 6
; NumVGPRsForWavesPerEU: 1
; AccumOffset: 4
; Occupancy: 8
; WaveLimiterHint : 0
; COMPUTE_PGM_RSRC2:SCRATCH_EN: 0
; COMPUTE_PGM_RSRC2:USER_SGPR: 2
; COMPUTE_PGM_RSRC2:TRAP_HANDLER: 0
; COMPUTE_PGM_RSRC2:TGID_X_EN: 1
; COMPUTE_PGM_RSRC2:TGID_Y_EN: 0
; COMPUTE_PGM_RSRC2:TGID_Z_EN: 0
; COMPUTE_PGM_RSRC2:TIDIG_COMP_CNT: 0
; COMPUTE_PGM_RSRC3_GFX90A:ACCUM_OFFSET: 0
; COMPUTE_PGM_RSRC3_GFX90A:TG_SPLIT: 0
	.section	.text._ZN7rocprim17ROCPRIM_304000_NS6detail20lookback_scan_kernelILNS1_25lookback_scan_determinismE0ELb0ENS1_19wrapped_scan_configINS0_14default_configEN3c108BFloat16EEEPKS7_PS7_St4plusIS7_ES7_S7_NS1_19lookback_scan_stateIS7_Lb0ELb1EEEEEvT2_T3_mT5_T4_T7_jPT6_SM_bb,"axG",@progbits,_ZN7rocprim17ROCPRIM_304000_NS6detail20lookback_scan_kernelILNS1_25lookback_scan_determinismE0ELb0ENS1_19wrapped_scan_configINS0_14default_configEN3c108BFloat16EEEPKS7_PS7_St4plusIS7_ES7_S7_NS1_19lookback_scan_stateIS7_Lb0ELb1EEEEEvT2_T3_mT5_T4_T7_jPT6_SM_bb,comdat
	.protected	_ZN7rocprim17ROCPRIM_304000_NS6detail20lookback_scan_kernelILNS1_25lookback_scan_determinismE0ELb0ENS1_19wrapped_scan_configINS0_14default_configEN3c108BFloat16EEEPKS7_PS7_St4plusIS7_ES7_S7_NS1_19lookback_scan_stateIS7_Lb0ELb1EEEEEvT2_T3_mT5_T4_T7_jPT6_SM_bb ; -- Begin function _ZN7rocprim17ROCPRIM_304000_NS6detail20lookback_scan_kernelILNS1_25lookback_scan_determinismE0ELb0ENS1_19wrapped_scan_configINS0_14default_configEN3c108BFloat16EEEPKS7_PS7_St4plusIS7_ES7_S7_NS1_19lookback_scan_stateIS7_Lb0ELb1EEEEEvT2_T3_mT5_T4_T7_jPT6_SM_bb
	.globl	_ZN7rocprim17ROCPRIM_304000_NS6detail20lookback_scan_kernelILNS1_25lookback_scan_determinismE0ELb0ENS1_19wrapped_scan_configINS0_14default_configEN3c108BFloat16EEEPKS7_PS7_St4plusIS7_ES7_S7_NS1_19lookback_scan_stateIS7_Lb0ELb1EEEEEvT2_T3_mT5_T4_T7_jPT6_SM_bb
	.p2align	8
	.type	_ZN7rocprim17ROCPRIM_304000_NS6detail20lookback_scan_kernelILNS1_25lookback_scan_determinismE0ELb0ENS1_19wrapped_scan_configINS0_14default_configEN3c108BFloat16EEEPKS7_PS7_St4plusIS7_ES7_S7_NS1_19lookback_scan_stateIS7_Lb0ELb1EEEEEvT2_T3_mT5_T4_T7_jPT6_SM_bb,@function
_ZN7rocprim17ROCPRIM_304000_NS6detail20lookback_scan_kernelILNS1_25lookback_scan_determinismE0ELb0ENS1_19wrapped_scan_configINS0_14default_configEN3c108BFloat16EEEPKS7_PS7_St4plusIS7_ES7_S7_NS1_19lookback_scan_stateIS7_Lb0ELb1EEEEEvT2_T3_mT5_T4_T7_jPT6_SM_bb: ; @_ZN7rocprim17ROCPRIM_304000_NS6detail20lookback_scan_kernelILNS1_25lookback_scan_determinismE0ELb0ENS1_19wrapped_scan_configINS0_14default_configEN3c108BFloat16EEEPKS7_PS7_St4plusIS7_ES7_S7_NS1_19lookback_scan_stateIS7_Lb0ELb1EEEEEvT2_T3_mT5_T4_T7_jPT6_SM_bb
; %bb.0:
	s_load_dword s3, s[0:1], 0x28
	s_load_dwordx4 s[4:7], s[0:1], 0x0
	s_load_dwordx2 s[8:9], s[0:1], 0x10
	s_mul_i32 s10, s2, 0x1800
	s_mov_b32 s11, 0
	s_waitcnt lgkmcnt(0)
	s_add_i32 s3, s3, -1
	s_mul_i32 s12, s3, 0x1800
	s_sub_u32 s20, s8, s12
	s_subb_u32 s21, s9, 0
	s_cmp_lg_u32 s2, s3
	s_cselect_b64 s[12:13], -1, 0
	s_lshl_b64 s[14:15], s[10:11], 1
	s_add_u32 s8, s4, s14
	s_addc_u32 s9, s5, s15
	s_mov_b64 s[4:5], -1
	s_and_b64 vcc, exec, s[12:13]
	v_lshlrev_b32_e32 v14, 1, v0
	s_cbranch_vccz .LBB115_2
; %bb.1:
	v_mov_b32_e32 v15, 0
	v_lshl_add_u64 v[2:3], s[8:9], 0, v[14:15]
	v_add_co_u32_e32 v4, vcc, 0x1000, v2
	global_load_ushort v1, v14, s[8:9]
	global_load_ushort v6, v14, s[8:9] offset:512
	global_load_ushort v7, v14, s[8:9] offset:1024
	;; [unrolled: 1-line block ×7, first 2 shown]
	v_addc_co_u32_e32 v5, vcc, 0, v3, vcc
	v_add_co_u32_e32 v2, vcc, 0x2000, v2
	global_load_ushort v13, v[4:5], off
	global_load_ushort v15, v[4:5], off offset:512
	global_load_ushort v16, v[4:5], off offset:1024
	;; [unrolled: 1-line block ×7, first 2 shown]
	v_addc_co_u32_e32 v3, vcc, 0, v3, vcc
	global_load_ushort v4, v[2:3], off
	global_load_ushort v5, v[2:3], off offset:512
	global_load_ushort v22, v[2:3], off offset:1024
	;; [unrolled: 1-line block ×7, first 2 shown]
	s_mov_b64 s[4:5], 0
	s_waitcnt vmcnt(23)
	ds_write_b16 v14, v1
	s_waitcnt vmcnt(22)
	ds_write_b16 v14, v6 offset:512
	s_waitcnt vmcnt(21)
	ds_write_b16 v14, v7 offset:1024
	;; [unrolled: 2-line block ×23, first 2 shown]
	s_waitcnt lgkmcnt(0)
	s_barrier
.LBB115_2:
	s_andn2_b64 vcc, exec, s[4:5]
	v_cmp_gt_u32_e64 s[4:5], s20, v0
	s_cbranch_vccnz .LBB115_52
; %bb.3:
	v_mov_b32_e32 v15, 0
	global_load_ushort v1, v15, s[8:9]
	v_lshl_add_u64 v[2:3], s[8:9], 0, v[14:15]
	s_waitcnt vmcnt(0)
	v_mov_b32_e32 v4, v1
	s_and_saveexec_b64 s[8:9], s[4:5]
	s_cbranch_execz .LBB115_5
; %bb.4:
	global_load_ushort v4, v[2:3], off
.LBB115_5:
	s_or_b64 exec, exec, s[8:9]
	v_or_b32_e32 v5, 0x100, v0
	v_cmp_gt_u32_e32 vcc, s20, v5
	v_mov_b32_e32 v5, v1
	s_and_saveexec_b64 s[4:5], vcc
	s_cbranch_execz .LBB115_7
; %bb.6:
	global_load_ushort v5, v[2:3], off offset:512
.LBB115_7:
	s_or_b64 exec, exec, s[4:5]
	v_or_b32_e32 v6, 0x200, v0
	v_cmp_gt_u32_e32 vcc, s20, v6
	v_mov_b32_e32 v6, v1
	s_and_saveexec_b64 s[4:5], vcc
	s_cbranch_execz .LBB115_9
; %bb.8:
	global_load_ushort v6, v[2:3], off offset:1024
.LBB115_9:
	;; [unrolled: 9-line block ×7, first 2 shown]
	s_or_b64 exec, exec, s[4:5]
	v_or_b32_e32 v12, 0x800, v0
	v_cmp_gt_u32_e32 vcc, s20, v12
	v_mov_b32_e32 v12, v1
	s_and_saveexec_b64 s[4:5], vcc
	s_cbranch_execz .LBB115_21
; %bb.20:
	v_add_co_u32_e32 v12, vcc, 0x1000, v2
	s_nop 1
	v_addc_co_u32_e32 v13, vcc, 0, v3, vcc
	global_load_ushort v12, v[12:13], off
.LBB115_21:
	s_or_b64 exec, exec, s[4:5]
	v_or_b32_e32 v13, 0x900, v0
	v_cmp_gt_u32_e32 vcc, s20, v13
	v_mov_b32_e32 v13, v1
	s_and_saveexec_b64 s[4:5], vcc
	s_cbranch_execz .LBB115_23
; %bb.22:
	v_add_co_u32_e32 v16, vcc, 0x1000, v2
	s_nop 1
	v_addc_co_u32_e32 v17, vcc, 0, v3, vcc
	global_load_ushort v13, v[16:17], off offset:512
.LBB115_23:
	s_or_b64 exec, exec, s[4:5]
	v_or_b32_e32 v15, 0xa00, v0
	v_cmp_gt_u32_e32 vcc, s20, v15
	v_mov_b32_e32 v15, v1
	s_and_saveexec_b64 s[4:5], vcc
	s_cbranch_execz .LBB115_25
; %bb.24:
	v_add_co_u32_e32 v16, vcc, 0x1000, v2
	s_nop 1
	v_addc_co_u32_e32 v17, vcc, 0, v3, vcc
	global_load_ushort v15, v[16:17], off offset:1024
.LBB115_25:
	;; [unrolled: 12-line block ×7, first 2 shown]
	s_or_b64 exec, exec, s[4:5]
	v_or_b32_e32 v21, 0x1000, v0
	v_cmp_gt_u32_e32 vcc, s20, v21
	v_mov_b32_e32 v21, v1
	s_and_saveexec_b64 s[4:5], vcc
	s_cbranch_execz .LBB115_37
; %bb.36:
	v_add_co_u32_e32 v22, vcc, 0x2000, v2
	s_nop 1
	v_addc_co_u32_e32 v23, vcc, 0, v3, vcc
	global_load_ushort v21, v[22:23], off
.LBB115_37:
	s_or_b64 exec, exec, s[4:5]
	v_or_b32_e32 v22, 0x1100, v0
	v_cmp_gt_u32_e32 vcc, s20, v22
	v_mov_b32_e32 v22, v1
	s_and_saveexec_b64 s[4:5], vcc
	s_cbranch_execz .LBB115_39
; %bb.38:
	v_add_co_u32_e32 v22, vcc, 0x2000, v2
	s_nop 1
	v_addc_co_u32_e32 v23, vcc, 0, v3, vcc
	global_load_ushort v22, v[22:23], off offset:512
.LBB115_39:
	s_or_b64 exec, exec, s[4:5]
	v_or_b32_e32 v23, 0x1200, v0
	v_cmp_gt_u32_e32 vcc, s20, v23
	v_mov_b32_e32 v23, v1
	s_and_saveexec_b64 s[4:5], vcc
	s_cbranch_execz .LBB115_41
; %bb.40:
	v_add_co_u32_e32 v24, vcc, 0x2000, v2
	s_nop 1
	v_addc_co_u32_e32 v25, vcc, 0, v3, vcc
	global_load_ushort v23, v[24:25], off offset:1024
.LBB115_41:
	;; [unrolled: 12-line block ×6, first 2 shown]
	s_or_b64 exec, exec, s[4:5]
	v_or_b32_e32 v28, 0x1700, v0
	v_cmp_gt_u32_e32 vcc, s20, v28
	s_and_saveexec_b64 s[4:5], vcc
	s_cbranch_execz .LBB115_51
; %bb.50:
	v_add_co_u32_e32 v2, vcc, 0x2000, v2
	s_nop 1
	v_addc_co_u32_e32 v3, vcc, 0, v3, vcc
	global_load_ushort v1, v[2:3], off offset:3584
.LBB115_51:
	s_or_b64 exec, exec, s[4:5]
	s_waitcnt vmcnt(0)
	ds_write_b16 v14, v4
	ds_write_b16 v14, v5 offset:512
	ds_write_b16 v14, v6 offset:1024
	;; [unrolled: 1-line block ×23, first 2 shown]
	s_waitcnt lgkmcnt(0)
	s_barrier
.LBB115_52:
	v_mul_u32_u24_e32 v22, 24, v0
	v_lshlrev_b32_e32 v1, 1, v22
	ds_read_b128 v[10:13], v1
	ds_read_b128 v[6:9], v1 offset:16
	ds_read_b128 v[2:5], v1 offset:32
	s_load_dwordx2 s[16:17], s[0:1], 0x20
	s_cmp_lg_u32 s2, 0
	v_mbcnt_lo_u32_b32 v15, -1, 0
	s_waitcnt lgkmcnt(0)
	s_barrier
	s_cbranch_scc0 .LBB115_121
; %bb.53:
	v_and_b32_e32 v23, 0xffff0000, v10
	v_lshlrev_b32_e32 v46, 16, v10
	v_add_f32_e32 v16, v23, v46
	v_bfe_u32 v17, v16, 16, 1
	s_movk_i32 s3, 0x7fff
	v_add3_u32 v17, v16, v17, s3
	v_and_b32_e32 v17, 0xffff0000, v17
	v_mov_b32_e32 v18, 0x7fc00000
	v_cmp_o_f32_e32 vcc, v16, v16
	v_mov_b32_e32 v20, 0x7fc0
	s_nop 0
	v_cndmask_b32_e32 v16, v18, v17, vcc
	v_mov_b32_e32 v17, 16
	v_lshlrev_b32_sdwa v24, v17, v11 dst_sel:DWORD dst_unused:UNUSED_PAD src0_sel:DWORD src1_sel:WORD_0
	v_add_f32_e32 v16, v16, v24
	v_bfe_u32 v19, v16, 16, 1
	v_add3_u32 v19, v16, v19, s3
	v_and_b32_e32 v19, 0xffff0000, v19
	v_cmp_o_f32_e32 vcc, v16, v16
	v_lshlrev_b32_sdwa v25, v17, v11 dst_sel:DWORD dst_unused:UNUSED_PAD src0_sel:DWORD src1_sel:WORD_1
	v_lshlrev_b32_sdwa v26, v17, v12 dst_sel:DWORD dst_unused:UNUSED_PAD src0_sel:DWORD src1_sel:WORD_0
	v_cndmask_b32_e32 v16, v18, v19, vcc
	v_add_f32_e32 v16, v16, v25
	v_bfe_u32 v19, v16, 16, 1
	v_add3_u32 v19, v16, v19, s3
	v_and_b32_e32 v19, 0xffff0000, v19
	v_cmp_o_f32_e32 vcc, v16, v16
	v_lshlrev_b32_sdwa v27, v17, v12 dst_sel:DWORD dst_unused:UNUSED_PAD src0_sel:DWORD src1_sel:WORD_1
	v_lshlrev_b32_sdwa v28, v17, v13 dst_sel:DWORD dst_unused:UNUSED_PAD src0_sel:DWORD src1_sel:WORD_0
	v_cndmask_b32_e32 v16, v18, v19, vcc
	;; [unrolled: 8-line block ×10, first 2 shown]
	v_add_f32_e32 v16, v16, v34
	v_bfe_u32 v19, v16, 16, 1
	v_add3_u32 v19, v16, v19, s3
	v_and_b32_e32 v19, 0xffff0000, v19
	v_cmp_o_f32_e32 vcc, v16, v16
	v_lshlrev_b32_sdwa v45, v17, v5 dst_sel:DWORD dst_unused:UNUSED_PAD src0_sel:DWORD src1_sel:WORD_1
	s_nop 0
	v_cndmask_b32_e32 v16, v18, v19, vcc
	v_add_f32_e32 v16, v16, v35
	v_bfe_u32 v19, v16, 16, 1
	v_add3_u32 v19, v16, v19, s3
	v_and_b32_e32 v19, 0xffff0000, v19
	v_cmp_o_f32_e32 vcc, v16, v16
	s_nop 1
	v_cndmask_b32_e32 v16, v18, v19, vcc
	v_add_f32_e32 v16, v16, v36
	v_bfe_u32 v19, v16, 16, 1
	v_add3_u32 v19, v16, v19, s3
	v_and_b32_e32 v19, 0xffff0000, v19
	v_cmp_o_f32_e32 vcc, v16, v16
	;; [unrolled: 7-line block ×10, first 2 shown]
	s_nop 1
	v_cndmask_b32_e32 v16, v18, v19, vcc
	v_add_f32_e32 v16, v16, v45
	v_bfe_u32 v17, v16, 16, 1
	v_add3_u32 v17, v16, v17, s3
	v_lshrrev_b32_e32 v17, 16, v17
	v_cmp_o_f32_e32 vcc, v16, v16
	s_nop 1
	v_cndmask_b32_e32 v16, v20, v17, vcc
	v_mbcnt_hi_u32_b32 v17, -1, v15
	v_and_b32_e32 v19, 15, v17
	v_and_b32_e32 v18, 0xffff, v16
	v_cmp_ne_u32_e32 vcc, 0, v19
	s_nop 0
	v_mov_b32_dpp v21, v18 row_shr:1 row_mask:0xf bank_mask:0xf
	s_and_saveexec_b64 s[4:5], vcc
; %bb.54:
	v_lshlrev_b32_e32 v16, 16, v18
	v_lshlrev_b32_e32 v18, 16, v21
	v_add_f32_e32 v16, v18, v16
	v_bfe_u32 v18, v16, 16, 1
	v_add3_u32 v18, v16, v18, s3
	v_lshrrev_b32_e32 v18, 16, v18
	v_cmp_o_f32_e32 vcc, v16, v16
	s_nop 1
	v_cndmask_b32_e32 v16, v20, v18, vcc
	v_and_b32_e32 v18, 0xffff, v16
; %bb.55:
	s_or_b64 exec, exec, s[4:5]
	s_nop 0
	v_mov_b32_dpp v20, v18 row_shr:2 row_mask:0xf bank_mask:0xf
	v_cmp_lt_u32_e32 vcc, 1, v19
	s_and_saveexec_b64 s[4:5], vcc
; %bb.56:
	v_lshlrev_b32_e32 v16, 16, v18
	v_lshlrev_b32_e32 v18, 16, v20
	v_add_f32_e32 v16, v18, v16
	v_bfe_u32 v18, v16, 16, 1
	v_add3_u32 v18, v16, v18, s3
	v_lshrrev_b32_e32 v18, 16, v18
	v_mov_b32_e32 v20, 0x7fc0
	v_cmp_o_f32_e32 vcc, v16, v16
	s_nop 1
	v_cndmask_b32_e32 v16, v20, v18, vcc
	v_and_b32_e32 v18, 0xffff, v16
; %bb.57:
	s_or_b64 exec, exec, s[4:5]
	s_nop 0
	v_mov_b32_dpp v20, v18 row_shr:4 row_mask:0xf bank_mask:0xf
	v_cmp_lt_u32_e32 vcc, 3, v19
	s_and_saveexec_b64 s[4:5], vcc
; %bb.58:
	v_lshlrev_b32_e32 v16, 16, v18
	v_lshlrev_b32_e32 v18, 16, v20
	v_add_f32_e32 v16, v18, v16
	v_bfe_u32 v18, v16, 16, 1
	v_add3_u32 v18, v16, v18, s3
	v_lshrrev_b32_e32 v18, 16, v18
	v_mov_b32_e32 v20, 0x7fc0
	;; [unrolled: 18-line block ×3, first 2 shown]
	v_cmp_o_f32_e32 vcc, v16, v16
	s_nop 1
	v_cndmask_b32_e32 v16, v19, v18, vcc
	v_and_b32_e32 v18, 0xffff, v16
; %bb.61:
	s_or_b64 exec, exec, s[4:5]
	v_and_b32_e32 v20, 16, v17
	v_mov_b32_dpp v19, v18 row_bcast:15 row_mask:0xf bank_mask:0xf
	v_cmp_ne_u32_e32 vcc, 0, v20
	s_and_saveexec_b64 s[4:5], vcc
; %bb.62:
	v_lshlrev_b32_e32 v16, 16, v18
	v_lshlrev_b32_e32 v18, 16, v19
	v_add_f32_e32 v16, v18, v16
	v_bfe_u32 v18, v16, 16, 1
	v_add3_u32 v18, v16, v18, s3
	v_lshrrev_b32_e32 v18, 16, v18
	v_mov_b32_e32 v19, 0x7fc0
	v_cmp_o_f32_e32 vcc, v16, v16
	s_nop 1
	v_cndmask_b32_e32 v16, v19, v18, vcc
	v_and_b32_e32 v18, 0xffff, v16
; %bb.63:
	s_or_b64 exec, exec, s[4:5]
	s_nop 0
	v_mov_b32_dpp v19, v18 row_bcast:31 row_mask:0xf bank_mask:0xf
	v_cmp_lt_u32_e32 vcc, 31, v17
	s_and_saveexec_b64 s[4:5], vcc
; %bb.64:
	v_lshlrev_b32_e32 v16, 16, v18
	v_lshlrev_b32_e32 v18, 16, v19
	v_add_f32_e32 v16, v18, v16
	v_bfe_u32 v18, v16, 16, 1
	v_add3_u32 v18, v16, v18, s3
	v_lshrrev_b32_e32 v18, 16, v18
	v_mov_b32_e32 v19, 0x7fc0
	v_cmp_o_f32_e32 vcc, v16, v16
	s_nop 1
	v_cndmask_b32_e32 v16, v19, v18, vcc
; %bb.65:
	s_or_b64 exec, exec, s[4:5]
	v_or_b32_e32 v19, 63, v0
	v_lshrrev_b32_e32 v18, 6, v0
	v_cmp_eq_u32_e32 vcc, v19, v0
	s_and_saveexec_b64 s[4:5], vcc
	s_cbranch_execz .LBB115_67
; %bb.66:
	v_lshlrev_b32_e32 v19, 1, v18
	ds_write_b16 v19, v16
.LBB115_67:
	s_or_b64 exec, exec, s[4:5]
	v_cmp_gt_u32_e32 vcc, 4, v0
	s_waitcnt lgkmcnt(0)
	s_barrier
	s_and_saveexec_b64 s[4:5], vcc
	s_cbranch_execz .LBB115_73
; %bb.68:
	ds_read_u16 v19, v14
	v_and_b32_e32 v20, 3, v17
	v_cmp_ne_u32_e32 vcc, 0, v20
	s_waitcnt lgkmcnt(0)
	v_and_b32_e32 v21, 0xffff, v19
	s_nop 1
	v_mov_b32_dpp v47, v21 row_shr:1 row_mask:0xf bank_mask:0xf
	s_and_saveexec_b64 s[8:9], vcc
; %bb.69:
	v_lshlrev_b32_e32 v19, 16, v21
	v_lshlrev_b32_e32 v21, 16, v47
	v_add_f32_e32 v19, v21, v19
	v_bfe_u32 v21, v19, 16, 1
	v_add3_u32 v21, v19, v21, s3
	v_lshrrev_b32_e32 v21, 16, v21
	v_mov_b32_e32 v47, 0x7fc0
	v_cmp_o_f32_e32 vcc, v19, v19
	s_nop 1
	v_cndmask_b32_e32 v19, v47, v21, vcc
	v_and_b32_e32 v21, 0xffff, v19
; %bb.70:
	s_or_b64 exec, exec, s[8:9]
	s_nop 0
	v_mov_b32_dpp v47, v21 row_shr:2 row_mask:0xf bank_mask:0xf
	v_cmp_lt_u32_e32 vcc, 1, v20
	s_and_saveexec_b64 s[8:9], vcc
; %bb.71:
	v_lshlrev_b32_e32 v19, 16, v21
	v_lshlrev_b32_e32 v20, 16, v47
	v_add_f32_e32 v19, v20, v19
	v_bfe_u32 v20, v19, 16, 1
	v_add3_u32 v20, v19, v20, s3
	v_lshrrev_b32_e32 v20, 16, v20
	v_mov_b32_e32 v21, 0x7fc0
	v_cmp_o_f32_e32 vcc, v19, v19
	s_nop 1
	v_cndmask_b32_e32 v19, v21, v20, vcc
; %bb.72:
	s_or_b64 exec, exec, s[8:9]
	ds_write_b16 v14, v19
.LBB115_73:
	s_or_b64 exec, exec, s[4:5]
	v_cmp_gt_u32_e32 vcc, 64, v0
	v_cmp_lt_u32_e64 s[4:5], 63, v0
	s_waitcnt lgkmcnt(0)
	s_barrier
	s_waitcnt lgkmcnt(0)
                                        ; implicit-def: $vgpr47
	s_and_saveexec_b64 s[8:9], s[4:5]
	s_cbranch_execz .LBB115_75
; %bb.74:
	v_lshl_add_u32 v18, v18, 1, -2
	ds_read_u16 v47, v18
	v_lshlrev_b32_e32 v16, 16, v16
	v_mov_b32_e32 v18, 0x7fc0
	s_waitcnt lgkmcnt(0)
	v_lshlrev_b32_e32 v19, 16, v47
	v_add_f32_e32 v16, v19, v16
	v_bfe_u32 v19, v16, 16, 1
	v_add3_u32 v19, v16, v19, s3
	v_lshrrev_b32_e32 v19, 16, v19
	v_cmp_o_f32_e64 s[4:5], v16, v16
	s_nop 1
	v_cndmask_b32_e64 v16, v18, v19, s[4:5]
.LBB115_75:
	s_or_b64 exec, exec, s[8:9]
	v_add_u32_e32 v18, -1, v17
	v_and_b32_e32 v19, 64, v17
	v_cmp_lt_i32_e64 s[4:5], v18, v19
	v_and_b32_e32 v16, 0xffff, v16
	s_nop 0
	v_cndmask_b32_e64 v18, v18, v17, s[4:5]
	v_lshlrev_b32_e32 v18, 2, v18
	ds_bpermute_b32 v48, v18, v16
	v_cmp_eq_u32_e64 s[4:5], 0, v17
	s_and_saveexec_b64 s[8:9], vcc
	s_cbranch_execz .LBB115_118
; %bb.76:
	v_mov_b32_e32 v19, 0
	ds_read_u16 v49, v19 offset:6
	s_and_saveexec_b64 s[10:11], s[4:5]
	s_cbranch_execz .LBB115_78
; %bb.77:
	s_add_i32 s18, s2, 64
	s_mov_b32 s19, 0
	s_lshl_b64 s[18:19], s[18:19], 2
	s_add_u32 s18, s16, s18
	s_addc_u32 s19, s17, s19
	s_waitcnt lgkmcnt(0)
	v_or_b32_e32 v16, 0x10000, v49
	global_store_dword v19, v16, s[18:19] sc1
.LBB115_78:
	s_or_b64 exec, exec, s[10:11]
	v_xad_u32 v16, v17, -1, s2
	v_add_u32_e32 v18, 64, v16
	v_lshl_add_u64 v[20:21], v[18:19], 2, s[16:17]
	global_load_dword v66, v[20:21], off sc1
	s_waitcnt vmcnt(0)
	v_lshrrev_b32_e32 v50, 16, v66
	v_cmp_eq_u16_sdwa s[18:19], v50, v19 src0_sel:BYTE_0 src1_sel:DWORD
	s_and_saveexec_b64 s[10:11], s[18:19]
	s_cbranch_execz .LBB115_82
; %bb.79:
	s_mov_b64 s[18:19], 0
	v_mov_b32_e32 v18, 0
.LBB115_80:                             ; =>This Inner Loop Header: Depth=1
	global_load_dword v66, v[20:21], off sc1
	s_waitcnt vmcnt(0)
	v_lshrrev_b32_e32 v50, 16, v66
	v_cmp_ne_u16_sdwa s[22:23], v50, v18 src0_sel:BYTE_0 src1_sel:DWORD
	s_or_b64 s[18:19], s[22:23], s[18:19]
	s_andn2_b64 exec, exec, s[18:19]
	s_cbranch_execnz .LBB115_80
; %bb.81:
	s_or_b64 exec, exec, s[18:19]
.LBB115_82:
	s_or_b64 exec, exec, s[10:11]
	v_mov_b32_e32 v18, 2
	v_cmp_eq_u16_sdwa s[10:11], v50, v18 src0_sel:BYTE_0 src1_sel:DWORD
	v_lshlrev_b64 v[18:19], v17, -1
	v_and_b32_e32 v63, 0xffff, v66
	v_and_b32_e32 v20, s11, v19
	v_or_b32_e32 v20, 0x80000000, v20
	v_ffbl_b32_e32 v20, v20
	v_add_u32_e32 v52, 32, v20
	v_and_b32_e32 v20, 63, v17
	v_cmp_ne_u32_e32 vcc, 63, v20
	v_and_b32_e32 v21, s10, v18
	v_ffbl_b32_e32 v21, v21
	v_addc_co_u32_e32 v51, vcc, 0, v17, vcc
	v_lshlrev_b32_e32 v51, 2, v51
	ds_bpermute_b32 v53, v51, v63
	v_min_u32_e32 v21, v21, v52
	v_add_u32_e32 v52, 1, v17
	v_cmp_le_u32_e32 vcc, v52, v21
	s_and_saveexec_b64 s[10:11], vcc
	s_cbranch_execz .LBB115_84
; %bb.83:
	v_lshlrev_b32_e32 v54, 16, v63
	s_waitcnt lgkmcnt(0)
	v_lshlrev_b32_e32 v53, 16, v53
	v_add_f32_e32 v53, v53, v54
	v_bfe_u32 v54, v53, 16, 1
	s_movk_i32 s3, 0x7fff
	v_add3_u32 v54, v53, v54, s3
	v_lshrrev_b32_e32 v54, 16, v54
	v_mov_b32_e32 v55, 0x7fc0
	v_cmp_o_f32_e32 vcc, v53, v53
	s_nop 1
	v_cndmask_b32_e32 v66, v55, v54, vcc
	v_and_b32_e32 v63, 0xffff, v66
.LBB115_84:
	s_or_b64 exec, exec, s[10:11]
	v_cmp_gt_u32_e32 vcc, 62, v20
	v_add_u32_e32 v54, 2, v17
	s_waitcnt lgkmcnt(0)
	v_cndmask_b32_e64 v53, 0, 1, vcc
	v_lshlrev_b32_e32 v53, 1, v53
	v_add_lshl_u32 v53, v53, v17, 2
	ds_bpermute_b32 v55, v53, v63
	v_cmp_le_u32_e32 vcc, v54, v21
	s_and_saveexec_b64 s[10:11], vcc
	s_cbranch_execz .LBB115_86
; %bb.85:
	v_lshlrev_b32_e32 v56, 16, v63
	s_waitcnt lgkmcnt(0)
	v_lshlrev_b32_e32 v55, 16, v55
	v_add_f32_e32 v55, v55, v56
	v_bfe_u32 v56, v55, 16, 1
	s_movk_i32 s3, 0x7fff
	v_add3_u32 v56, v55, v56, s3
	v_lshrrev_b32_e32 v56, 16, v56
	v_mov_b32_e32 v57, 0x7fc0
	v_cmp_o_f32_e32 vcc, v55, v55
	s_nop 1
	v_cndmask_b32_e32 v66, v57, v56, vcc
	v_and_b32_e32 v63, 0xffff, v66
.LBB115_86:
	s_or_b64 exec, exec, s[10:11]
	v_cmp_gt_u32_e32 vcc, 60, v20
	v_add_u32_e32 v56, 4, v17
	s_waitcnt lgkmcnt(0)
	v_cndmask_b32_e64 v55, 0, 1, vcc
	v_lshlrev_b32_e32 v55, 2, v55
	v_add_lshl_u32 v55, v55, v17, 2
	ds_bpermute_b32 v57, v55, v63
	;; [unrolled: 26-line block ×4, first 2 shown]
	v_cmp_le_u32_e32 vcc, v60, v21
	s_and_saveexec_b64 s[10:11], vcc
	s_cbranch_execz .LBB115_92
; %bb.91:
	v_lshlrev_b32_e32 v62, 16, v63
	s_waitcnt lgkmcnt(0)
	v_lshlrev_b32_e32 v61, 16, v61
	v_add_f32_e32 v61, v61, v62
	v_bfe_u32 v62, v61, 16, 1
	s_movk_i32 s3, 0x7fff
	v_add3_u32 v62, v61, v62, s3
	v_lshrrev_b32_e32 v62, 16, v62
	v_mov_b32_e32 v63, 0x7fc0
	v_cmp_o_f32_e32 vcc, v61, v61
	s_nop 1
	v_cndmask_b32_e32 v66, v63, v62, vcc
	v_and_b32_e32 v63, 0xffff, v66
.LBB115_92:
	s_or_b64 exec, exec, s[10:11]
	v_cmp_gt_u32_e32 vcc, 32, v20
	v_add_u32_e32 v62, 32, v17
	s_nop 0
	v_cndmask_b32_e64 v20, 0, 1, vcc
	v_lshlrev_b32_e32 v20, 5, v20
	s_waitcnt lgkmcnt(0)
	v_add_lshl_u32 v61, v20, v17, 2
	ds_bpermute_b32 v20, v61, v63
	v_cmp_le_u32_e32 vcc, v62, v21
	s_and_saveexec_b64 s[10:11], vcc
	s_cbranch_execz .LBB115_94
; %bb.93:
	v_lshlrev_b32_e32 v17, 16, v63
	s_waitcnt lgkmcnt(0)
	v_lshlrev_b32_e32 v20, 16, v20
	v_add_f32_e32 v17, v20, v17
	v_bfe_u32 v20, v17, 16, 1
	s_movk_i32 s3, 0x7fff
	v_add3_u32 v20, v17, v20, s3
	v_lshrrev_b32_e32 v20, 16, v20
	v_mov_b32_e32 v21, 0x7fc0
	v_cmp_o_f32_e32 vcc, v17, v17
	s_nop 1
	v_cndmask_b32_e32 v66, v21, v20, vcc
.LBB115_94:
	s_or_b64 exec, exec, s[10:11]
	v_mov_b32_e32 v17, 0
	s_movk_i32 s3, 0x7fff
	v_mov_b32_e32 v64, 2
	v_mov_b32_e32 v65, 0x7fc0
	s_branch .LBB115_96
.LBB115_95:                             ;   in Loop: Header=BB115_96 Depth=1
	s_or_b64 exec, exec, s[10:11]
	v_lshlrev_b32_e32 v20, 16, v63
	v_lshlrev_b32_e32 v21, 16, v66
	v_add_f32_e32 v20, v21, v20
	v_bfe_u32 v21, v20, 16, 1
	v_add3_u32 v21, v20, v21, s3
	v_lshrrev_b32_e32 v21, 16, v21
	v_cmp_o_f32_e32 vcc, v20, v20
	v_subrev_u32_e32 v16, 64, v16
	s_nop 0
	v_cndmask_b32_e32 v66, v65, v21, vcc
.LBB115_96:                             ; =>This Loop Header: Depth=1
                                        ;     Child Loop BB115_99 Depth 2
	v_cmp_ne_u16_sdwa s[10:11], v50, v64 src0_sel:BYTE_0 src1_sel:DWORD
	v_mov_b32_e32 v63, v66
	s_waitcnt lgkmcnt(0)
	v_cndmask_b32_e64 v20, 0, 1, s[10:11]
	;;#ASMSTART
	;;#ASMEND
	s_nop 0
	v_cmp_ne_u32_e32 vcc, 0, v20
	s_cmp_lg_u64 vcc, exec
	s_cbranch_scc1 .LBB115_113
; %bb.97:                               ;   in Loop: Header=BB115_96 Depth=1
	v_lshl_add_u64 v[20:21], v[16:17], 2, s[16:17]
	global_load_dword v66, v[20:21], off sc1
	s_waitcnt vmcnt(0)
	v_lshrrev_b32_e32 v50, 16, v66
	v_cmp_eq_u16_sdwa s[18:19], v50, v17 src0_sel:BYTE_0 src1_sel:DWORD
	s_and_saveexec_b64 s[10:11], s[18:19]
	s_cbranch_execz .LBB115_101
; %bb.98:                               ;   in Loop: Header=BB115_96 Depth=1
	s_mov_b64 s[18:19], 0
.LBB115_99:                             ;   Parent Loop BB115_96 Depth=1
                                        ; =>  This Inner Loop Header: Depth=2
	global_load_dword v66, v[20:21], off sc1
	s_waitcnt vmcnt(0)
	v_lshrrev_b32_e32 v50, 16, v66
	v_cmp_ne_u16_sdwa s[22:23], v50, v17 src0_sel:BYTE_0 src1_sel:DWORD
	s_or_b64 s[18:19], s[22:23], s[18:19]
	s_andn2_b64 exec, exec, s[18:19]
	s_cbranch_execnz .LBB115_99
; %bb.100:                              ;   in Loop: Header=BB115_96 Depth=1
	s_or_b64 exec, exec, s[18:19]
.LBB115_101:                            ;   in Loop: Header=BB115_96 Depth=1
	s_or_b64 exec, exec, s[10:11]
	v_cmp_eq_u16_sdwa s[10:11], v50, v64 src0_sel:BYTE_0 src1_sel:DWORD
	v_and_b32_e32 v21, 0xffff, v66
	ds_bpermute_b32 v67, v51, v21
	v_and_b32_e32 v20, s11, v19
	v_or_b32_e32 v20, 0x80000000, v20
	v_and_b32_e32 v68, s10, v18
	v_ffbl_b32_e32 v20, v20
	v_add_u32_e32 v20, 32, v20
	v_ffbl_b32_e32 v68, v68
	v_min_u32_e32 v20, v68, v20
	v_cmp_le_u32_e32 vcc, v52, v20
	s_and_saveexec_b64 s[10:11], vcc
	s_cbranch_execz .LBB115_103
; %bb.102:                              ;   in Loop: Header=BB115_96 Depth=1
	v_lshlrev_b32_e32 v21, 16, v21
	s_waitcnt lgkmcnt(0)
	v_lshlrev_b32_e32 v66, 16, v67
	v_add_f32_e32 v21, v66, v21
	v_bfe_u32 v66, v21, 16, 1
	v_add3_u32 v66, v21, v66, s3
	v_lshrrev_b32_e32 v66, 16, v66
	v_cmp_o_f32_e32 vcc, v21, v21
	s_nop 1
	v_cndmask_b32_e32 v66, v65, v66, vcc
	v_and_b32_e32 v21, 0xffff, v66
.LBB115_103:                            ;   in Loop: Header=BB115_96 Depth=1
	s_or_b64 exec, exec, s[10:11]
	s_waitcnt lgkmcnt(0)
	ds_bpermute_b32 v67, v53, v21
	v_cmp_le_u32_e32 vcc, v54, v20
	s_and_saveexec_b64 s[10:11], vcc
	s_cbranch_execz .LBB115_105
; %bb.104:                              ;   in Loop: Header=BB115_96 Depth=1
	v_lshlrev_b32_e32 v21, 16, v21
	s_waitcnt lgkmcnt(0)
	v_lshlrev_b32_e32 v66, 16, v67
	v_add_f32_e32 v21, v66, v21
	v_bfe_u32 v66, v21, 16, 1
	v_add3_u32 v66, v21, v66, s3
	v_lshrrev_b32_e32 v66, 16, v66
	v_cmp_o_f32_e32 vcc, v21, v21
	s_nop 1
	v_cndmask_b32_e32 v66, v65, v66, vcc
	v_and_b32_e32 v21, 0xffff, v66
.LBB115_105:                            ;   in Loop: Header=BB115_96 Depth=1
	s_or_b64 exec, exec, s[10:11]
	s_waitcnt lgkmcnt(0)
	ds_bpermute_b32 v67, v55, v21
	;; [unrolled: 19-line block ×5, first 2 shown]
	v_cmp_le_u32_e32 vcc, v62, v20
	s_and_saveexec_b64 s[10:11], vcc
	s_cbranch_execz .LBB115_95
; %bb.112:                              ;   in Loop: Header=BB115_96 Depth=1
	v_lshlrev_b32_e32 v20, 16, v21
	s_waitcnt lgkmcnt(0)
	v_lshlrev_b32_e32 v21, 16, v67
	v_add_f32_e32 v20, v21, v20
	v_bfe_u32 v21, v20, 16, 1
	v_add3_u32 v21, v20, v21, s3
	v_lshrrev_b32_e32 v21, 16, v21
	v_cmp_o_f32_e32 vcc, v20, v20
	s_nop 1
	v_cndmask_b32_e32 v66, v65, v21, vcc
	s_branch .LBB115_95
.LBB115_113:                            ;   in Loop: Header=BB115_96 Depth=1
                                        ; implicit-def: $vgpr66
                                        ; implicit-def: $vgpr50
	s_cbranch_execz .LBB115_96
; %bb.114:
	s_and_saveexec_b64 s[10:11], s[4:5]
	s_cbranch_execz .LBB115_116
; %bb.115:
	v_lshlrev_b32_e32 v16, 16, v49
	v_lshlrev_b32_e32 v17, 16, v63
	v_add_f32_e32 v16, v17, v16
	v_bfe_u32 v17, v16, 16, 1
	s_movk_i32 s3, 0x7fff
	v_add3_u32 v17, v16, v17, s3
	s_add_i32 s2, s2, 64
	s_mov_b32 s3, 0
	s_lshl_b64 s[2:3], s[2:3], 2
	s_mov_b32 s18, 0x20000
	s_add_u32 s2, s16, s2
	v_or_b32_sdwa v17, v17, s18 dst_sel:DWORD dst_unused:UNUSED_PAD src0_sel:WORD_1 src1_sel:DWORD
	v_mov_b32_e32 v19, 0x27fc0
	v_cmp_o_f32_e32 vcc, v16, v16
	s_addc_u32 s3, s17, s3
	v_mov_b32_e32 v18, 0
	v_cndmask_b32_e32 v16, v19, v17, vcc
	global_store_dword v18, v16, s[2:3] sc1
.LBB115_116:
	s_or_b64 exec, exec, s[10:11]
	v_cmp_eq_u32_e32 vcc, 0, v0
	s_and_b64 exec, exec, vcc
	s_cbranch_execz .LBB115_118
; %bb.117:
	v_mov_b32_e32 v16, 0
	ds_write_b16 v16, v63 offset:6
.LBB115_118:
	s_or_b64 exec, exec, s[8:9]
	v_mov_b32_e32 v16, 0
	s_waitcnt lgkmcnt(0)
	s_barrier
	ds_read_u16 v16, v16 offset:6
	v_cmp_ne_u32_e32 vcc, 0, v0
	s_and_saveexec_b64 s[2:3], vcc
; %bb.119:
	v_cndmask_b32_e64 v17, v48, v47, s[4:5]
	v_lshlrev_b32_e32 v17, 16, v17
	v_add_f32_e32 v17, v46, v17
	v_bfe_u32 v18, v17, 16, 1
	s_movk_i32 s4, 0x7fff
	v_add3_u32 v18, v17, v18, s4
	v_and_b32_e32 v18, 0xffff0000, v18
	v_mov_b32_e32 v19, 0x7fc00000
	v_cmp_o_f32_e32 vcc, v17, v17
	s_nop 1
	v_cndmask_b32_e32 v46, v19, v18, vcc
; %bb.120:
	s_or_b64 exec, exec, s[2:3]
	s_waitcnt lgkmcnt(0)
	v_lshlrev_b32_e32 v16, 16, v16
	v_add_f32_e32 v16, v46, v16
	v_bfe_u32 v17, v16, 16, 1
	s_movk_i32 s2, 0x7fff
	v_add3_u32 v17, v16, v17, s2
	v_lshrrev_b32_e32 v17, 16, v17
	v_mov_b32_e32 v47, 0x7fc0
	v_cmp_o_f32_e32 vcc, v16, v16
	s_nop 1
	v_cndmask_b32_e32 v16, v47, v17, vcc
	v_lshlrev_b32_e32 v17, 16, v16
	v_add_f32_e32 v17, v23, v17
	v_bfe_u32 v18, v17, 16, 1
	v_add3_u32 v18, v17, v18, s2
	v_lshrrev_b32_e32 v18, 16, v18
	v_cmp_o_f32_e32 vcc, v17, v17
	s_nop 1
	v_cndmask_b32_e32 v17, v47, v18, vcc
	v_lshlrev_b32_e32 v18, 16, v17
	v_add_f32_e32 v18, v24, v18
	v_bfe_u32 v19, v18, 16, 1
	v_add3_u32 v19, v18, v19, s2
	v_lshrrev_b32_e32 v19, 16, v19
	v_cmp_o_f32_e32 vcc, v18, v18
	s_nop 1
	v_cndmask_b32_e32 v18, v47, v19, vcc
	v_lshlrev_b32_e32 v19, 16, v18
	v_add_f32_e32 v19, v25, v19
	v_bfe_u32 v20, v19, 16, 1
	v_add3_u32 v20, v19, v20, s2
	v_lshrrev_b32_e32 v20, 16, v20
	v_cmp_o_f32_e32 vcc, v19, v19
	s_nop 1
	v_cndmask_b32_e32 v19, v47, v20, vcc
	v_lshlrev_b32_e32 v20, 16, v19
	v_add_f32_e32 v20, v26, v20
	v_bfe_u32 v21, v20, 16, 1
	v_add3_u32 v21, v20, v21, s2
	v_lshrrev_b32_e32 v21, 16, v21
	v_cmp_o_f32_e32 vcc, v20, v20
	s_nop 1
	v_cndmask_b32_e32 v20, v47, v21, vcc
	v_lshlrev_b32_e32 v21, 16, v20
	v_add_f32_e32 v21, v27, v21
	v_bfe_u32 v23, v21, 16, 1
	v_add3_u32 v23, v21, v23, s2
	v_lshrrev_b32_e32 v23, 16, v23
	v_cmp_o_f32_e32 vcc, v21, v21
	s_nop 1
	v_cndmask_b32_e32 v21, v47, v23, vcc
	v_lshlrev_b32_e32 v23, 16, v21
	v_add_f32_e32 v23, v28, v23
	v_bfe_u32 v24, v23, 16, 1
	v_add3_u32 v24, v23, v24, s2
	v_lshrrev_b32_e32 v24, 16, v24
	v_cmp_o_f32_e32 vcc, v23, v23
	s_nop 1
	v_cndmask_b32_e32 v23, v47, v24, vcc
	v_lshlrev_b32_e32 v24, 16, v23
	v_add_f32_e32 v24, v29, v24
	v_bfe_u32 v25, v24, 16, 1
	v_add3_u32 v25, v24, v25, s2
	v_lshrrev_b32_e32 v25, 16, v25
	v_cmp_o_f32_e32 vcc, v24, v24
	s_nop 1
	v_cndmask_b32_e32 v24, v47, v25, vcc
	v_lshlrev_b32_e32 v25, 16, v24
	v_add_f32_e32 v25, v30, v25
	v_bfe_u32 v26, v25, 16, 1
	v_add3_u32 v26, v25, v26, s2
	v_lshrrev_b32_e32 v26, 16, v26
	v_cmp_o_f32_e32 vcc, v25, v25
	s_nop 1
	v_cndmask_b32_e32 v25, v47, v26, vcc
	v_lshlrev_b32_e32 v26, 16, v25
	v_add_f32_e32 v26, v31, v26
	v_bfe_u32 v27, v26, 16, 1
	v_add3_u32 v27, v26, v27, s2
	v_lshrrev_b32_e32 v27, 16, v27
	v_cmp_o_f32_e32 vcc, v26, v26
	s_nop 1
	v_cndmask_b32_e32 v26, v47, v27, vcc
	v_lshlrev_b32_e32 v27, 16, v26
	v_add_f32_e32 v27, v32, v27
	v_bfe_u32 v28, v27, 16, 1
	v_add3_u32 v28, v27, v28, s2
	v_lshrrev_b32_e32 v28, 16, v28
	v_cmp_o_f32_e32 vcc, v27, v27
	s_nop 1
	v_cndmask_b32_e32 v27, v47, v28, vcc
	v_lshlrev_b32_e32 v28, 16, v27
	v_add_f32_e32 v28, v33, v28
	v_bfe_u32 v29, v28, 16, 1
	v_add3_u32 v29, v28, v29, s2
	v_lshrrev_b32_e32 v29, 16, v29
	v_cmp_o_f32_e32 vcc, v28, v28
	s_nop 1
	v_cndmask_b32_e32 v46, v47, v29, vcc
	v_lshlrev_b32_e32 v28, 16, v46
	v_add_f32_e32 v28, v34, v28
	v_bfe_u32 v29, v28, 16, 1
	v_add3_u32 v29, v28, v29, s2
	v_lshrrev_b32_e32 v29, 16, v29
	v_cmp_o_f32_e32 vcc, v28, v28
	s_nop 1
	v_cndmask_b32_e32 v28, v47, v29, vcc
	v_lshlrev_b32_e32 v29, 16, v28
	v_add_f32_e32 v29, v35, v29
	v_bfe_u32 v30, v29, 16, 1
	v_add3_u32 v30, v29, v30, s2
	v_lshrrev_b32_e32 v30, 16, v30
	v_cmp_o_f32_e32 vcc, v29, v29
	s_nop 1
	v_cndmask_b32_e32 v34, v47, v30, vcc
	v_lshlrev_b32_e32 v29, 16, v34
	v_add_f32_e32 v29, v36, v29
	v_bfe_u32 v30, v29, 16, 1
	v_add3_u32 v30, v29, v30, s2
	v_lshrrev_b32_e32 v30, 16, v30
	v_cmp_o_f32_e32 vcc, v29, v29
	s_nop 1
	v_cndmask_b32_e32 v29, v47, v30, vcc
	v_lshlrev_b32_e32 v30, 16, v29
	v_add_f32_e32 v30, v37, v30
	v_bfe_u32 v31, v30, 16, 1
	v_add3_u32 v31, v30, v31, s2
	v_lshrrev_b32_e32 v31, 16, v31
	v_cmp_o_f32_e32 vcc, v30, v30
	s_nop 1
	v_cndmask_b32_e32 v35, v47, v31, vcc
	v_lshlrev_b32_e32 v30, 16, v35
	v_add_f32_e32 v30, v38, v30
	v_bfe_u32 v31, v30, 16, 1
	v_add3_u32 v31, v30, v31, s2
	v_lshrrev_b32_e32 v31, 16, v31
	v_cmp_o_f32_e32 vcc, v30, v30
	s_nop 1
	v_cndmask_b32_e32 v30, v47, v31, vcc
	v_lshlrev_b32_e32 v31, 16, v30
	v_add_f32_e32 v31, v39, v31
	v_bfe_u32 v32, v31, 16, 1
	v_add3_u32 v32, v31, v32, s2
	v_lshrrev_b32_e32 v32, 16, v32
	v_cmp_o_f32_e32 vcc, v31, v31
	s_nop 1
	v_cndmask_b32_e32 v36, v47, v32, vcc
	v_lshlrev_b32_e32 v31, 16, v36
	v_add_f32_e32 v31, v40, v31
	v_bfe_u32 v32, v31, 16, 1
	v_add3_u32 v32, v31, v32, s2
	v_lshrrev_b32_e32 v32, 16, v32
	v_cmp_o_f32_e32 vcc, v31, v31
	s_nop 1
	v_cndmask_b32_e32 v31, v47, v32, vcc
	v_lshlrev_b32_e32 v32, 16, v31
	v_add_f32_e32 v32, v41, v32
	v_bfe_u32 v33, v32, 16, 1
	v_add3_u32 v33, v32, v33, s2
	v_lshrrev_b32_e32 v33, 16, v33
	v_cmp_o_f32_e32 vcc, v32, v32
	s_nop 1
	v_cndmask_b32_e32 v37, v47, v33, vcc
	v_lshlrev_b32_e32 v32, 16, v37
	v_add_f32_e32 v32, v42, v32
	v_bfe_u32 v33, v32, 16, 1
	v_add3_u32 v33, v32, v33, s2
	v_lshrrev_b32_e32 v33, 16, v33
	v_cmp_o_f32_e32 vcc, v32, v32
	s_nop 1
	v_cndmask_b32_e32 v32, v47, v33, vcc
	v_lshlrev_b32_e32 v33, 16, v32
	v_add_f32_e32 v33, v43, v33
	v_bfe_u32 v38, v33, 16, 1
	v_add3_u32 v38, v33, v38, s2
	v_lshrrev_b32_e32 v38, 16, v38
	v_cmp_o_f32_e32 vcc, v33, v33
	s_nop 1
	v_cndmask_b32_e32 v38, v47, v38, vcc
	v_lshlrev_b32_e32 v33, 16, v38
	v_add_f32_e32 v33, v44, v33
	v_bfe_u32 v39, v33, 16, 1
	v_add3_u32 v39, v33, v39, s2
	v_lshrrev_b32_e32 v39, 16, v39
	v_cmp_o_f32_e32 vcc, v33, v33
	s_nop 1
	v_cndmask_b32_e32 v33, v47, v39, vcc
	v_lshlrev_b32_e32 v39, 16, v33
	v_add_f32_e32 v39, v45, v39
	v_bfe_u32 v40, v39, 16, 1
	v_add3_u32 v40, v39, v40, s2
	v_lshrrev_b32_e32 v40, 16, v40
	v_cmp_o_f32_e32 vcc, v39, v39
	s_nop 1
	v_cndmask_b32_e32 v39, v47, v40, vcc
	s_load_dwordx4 s[8:11], s[0:1], 0x30
	s_branch .LBB115_151
.LBB115_121:
                                        ; implicit-def: $vgpr16
                                        ; implicit-def: $vgpr17
                                        ; implicit-def: $vgpr18
                                        ; implicit-def: $vgpr19
                                        ; implicit-def: $vgpr20
                                        ; implicit-def: $vgpr21
                                        ; implicit-def: $vgpr23
                                        ; implicit-def: $vgpr24
                                        ; implicit-def: $vgpr25
                                        ; implicit-def: $vgpr26
                                        ; implicit-def: $vgpr27
                                        ; implicit-def: $vgpr46
                                        ; implicit-def: $vgpr28
                                        ; implicit-def: $vgpr34
                                        ; implicit-def: $vgpr29
                                        ; implicit-def: $vgpr35
                                        ; implicit-def: $vgpr30
                                        ; implicit-def: $vgpr36
                                        ; implicit-def: $vgpr31
                                        ; implicit-def: $vgpr37
                                        ; implicit-def: $vgpr32
                                        ; implicit-def: $vgpr38
                                        ; implicit-def: $vgpr33
                                        ; implicit-def: $vgpr39
	s_load_dwordx4 s[8:11], s[0:1], 0x30
	s_cbranch_execz .LBB115_151
; %bb.122:
	s_load_dword s4, s[0:1], 0x40
	v_cmp_eq_u32_e32 vcc, 0, v0
	v_cmp_ne_u32_e64 s[2:3], 0, v0
	v_mov_b32_e32 v16, v10
	s_waitcnt lgkmcnt(0)
	s_bitcmp1_b32 s4, 0
	s_cselect_b64 s[4:5], -1, 0
	s_and_b64 s[4:5], vcc, s[4:5]
	s_and_saveexec_b64 s[18:19], s[4:5]
	s_cbranch_execz .LBB115_124
; %bb.123:
	v_mov_b32_e32 v16, 0
	global_load_ushort v16, v16, s[8:9]
	v_lshlrev_b32_e32 v17, 16, v10
	s_movk_i32 s4, 0x7fff
	v_mov_b32_e32 v18, 0x7fc0
	s_waitcnt vmcnt(0)
	v_lshlrev_b32_e32 v16, 16, v16
	v_add_f32_e32 v16, v16, v17
	v_bfe_u32 v17, v16, 16, 1
	v_add3_u32 v17, v16, v17, s4
	v_lshrrev_b32_e32 v17, 16, v17
	v_cmp_o_f32_e64 s[4:5], v16, v16
	s_nop 1
	v_cndmask_b32_e64 v16, v18, v17, s[4:5]
.LBB115_124:
	s_or_b64 exec, exec, s[18:19]
	v_and_b32_e32 v17, 0xffff0000, v10
	v_lshlrev_b32_e32 v21, 16, v16
	v_add_f32_e32 v19, v21, v17
	v_bfe_u32 v10, v19, 16, 1
	s_movk_i32 s18, 0x7fff
	v_add3_u32 v20, v19, v10, s18
	v_and_b32_e32 v10, 0xffff0000, v20
	v_mov_b32_e32 v24, 0x7fc00000
	v_cmp_o_f32_e64 s[4:5], v19, v19
	v_mov_b32_e32 v26, 16
	v_lshlrev_b32_sdwa v18, v26, v11 dst_sel:DWORD dst_unused:UNUSED_PAD src0_sel:DWORD src1_sel:WORD_0
	v_cndmask_b32_e64 v10, v24, v10, s[4:5]
	v_add_f32_e32 v10, v10, v18
	v_bfe_u32 v23, v10, 16, 1
	v_add3_u32 v23, v10, v23, s18
	v_and_b32_e32 v23, 0xffff0000, v23
	v_cmp_o_f32_e64 s[4:5], v10, v10
	v_lshlrev_b32_sdwa v10, v26, v11 dst_sel:DWORD dst_unused:UNUSED_PAD src0_sel:DWORD src1_sel:WORD_1
	v_mbcnt_hi_u32_b32 v15, -1, v15
	v_cndmask_b32_e64 v23, v24, v23, s[4:5]
	v_add_f32_e32 v11, v23, v10
	v_bfe_u32 v23, v11, 16, 1
	v_add3_u32 v23, v11, v23, s18
	v_and_b32_e32 v23, 0xffff0000, v23
	v_cmp_o_f32_e64 s[4:5], v11, v11
	v_lshlrev_b32_sdwa v11, v26, v12 dst_sel:DWORD dst_unused:UNUSED_PAD src0_sel:DWORD src1_sel:WORD_0
	v_lshlrev_b32_sdwa v12, v26, v12 dst_sel:DWORD dst_unused:UNUSED_PAD src0_sel:DWORD src1_sel:WORD_1
	v_cndmask_b32_e64 v23, v24, v23, s[4:5]
	v_add_f32_e32 v23, v23, v11
	v_bfe_u32 v25, v23, 16, 1
	v_add3_u32 v25, v23, v25, s18
	v_and_b32_e32 v25, 0xffff0000, v25
	v_cmp_o_f32_e64 s[4:5], v23, v23
	s_nop 1
	v_cndmask_b32_e64 v23, v24, v25, s[4:5]
	v_add_f32_e32 v23, v23, v12
	v_bfe_u32 v25, v23, 16, 1
	v_add3_u32 v25, v23, v25, s18
	v_and_b32_e32 v25, 0xffff0000, v25
	v_cmp_o_f32_e64 s[4:5], v23, v23
	v_lshlrev_b32_sdwa v23, v26, v13 dst_sel:DWORD dst_unused:UNUSED_PAD src0_sel:DWORD src1_sel:WORD_0
	v_lshlrev_b32_sdwa v13, v26, v13 dst_sel:DWORD dst_unused:UNUSED_PAD src0_sel:DWORD src1_sel:WORD_1
	v_cndmask_b32_e64 v25, v24, v25, s[4:5]
	v_add_f32_e32 v25, v25, v23
	v_bfe_u32 v27, v25, 16, 1
	v_add3_u32 v27, v25, v27, s18
	v_and_b32_e32 v27, 0xffff0000, v27
	v_cmp_o_f32_e64 s[4:5], v25, v25
	s_nop 1
	;; [unrolled: 15-line block ×9, first 2 shown]
	v_cndmask_b32_e64 v33, v24, v34, s[4:5]
	v_add_f32_e32 v33, v33, v4
	v_bfe_u32 v34, v33, 16, 1
	v_add3_u32 v34, v33, v34, s18
	v_and_b32_e32 v34, 0xffff0000, v34
	v_cmp_o_f32_e64 s[4:5], v33, v33
	v_lshlrev_b32_sdwa v33, v26, v5 dst_sel:DWORD dst_unused:UNUSED_PAD src0_sel:DWORD src1_sel:WORD_0
	v_lshlrev_b32_sdwa v5, v26, v5 dst_sel:DWORD dst_unused:UNUSED_PAD src0_sel:DWORD src1_sel:WORD_1
	v_cndmask_b32_e64 v34, v24, v34, s[4:5]
	v_add_f32_e32 v34, v34, v33
	v_bfe_u32 v35, v34, 16, 1
	v_add3_u32 v35, v34, v35, s18
	v_and_b32_e32 v35, 0xffff0000, v35
	v_cmp_o_f32_e64 s[4:5], v34, v34
	v_and_b32_e32 v34, 15, v15
	s_nop 0
	v_cndmask_b32_e64 v24, v24, v35, s[4:5]
	v_add_f32_e32 v24, v24, v5
	v_bfe_u32 v26, v24, 16, 1
	v_add3_u32 v26, v24, v26, s18
	v_lshrrev_b32_e32 v26, 16, v26
	v_mov_b32_e32 v35, 0x7fc0
	v_cmp_o_f32_e64 s[4:5], v24, v24
	s_nop 1
	v_cndmask_b32_e64 v24, v35, v26, s[4:5]
	v_and_b32_e32 v26, 0xffff, v24
	v_cmp_ne_u32_e64 s[4:5], 0, v34
	s_nop 0
	v_mov_b32_dpp v36, v26 row_shr:1 row_mask:0xf bank_mask:0xf
	s_and_saveexec_b64 s[8:9], s[4:5]
; %bb.125:
	v_lshlrev_b32_e32 v24, 16, v36
	v_lshlrev_b32_e32 v26, 16, v26
	v_add_f32_e32 v24, v26, v24
	v_bfe_u32 v26, v24, 16, 1
	v_add3_u32 v26, v24, v26, s18
	v_lshrrev_b32_e32 v26, 16, v26
	v_cmp_o_f32_e64 s[4:5], v24, v24
	s_nop 1
	v_cndmask_b32_e64 v24, v35, v26, s[4:5]
	v_and_b32_e32 v26, 0xffff, v24
; %bb.126:
	s_or_b64 exec, exec, s[8:9]
	s_nop 0
	v_mov_b32_dpp v35, v26 row_shr:2 row_mask:0xf bank_mask:0xf
	v_cmp_lt_u32_e64 s[4:5], 1, v34
	s_and_saveexec_b64 s[8:9], s[4:5]
; %bb.127:
	v_lshlrev_b32_e32 v24, 16, v26
	v_lshlrev_b32_e32 v26, 16, v35
	v_add_f32_e32 v24, v26, v24
	v_bfe_u32 v26, v24, 16, 1
	s_movk_i32 s4, 0x7fff
	v_add3_u32 v26, v24, v26, s4
	v_lshrrev_b32_e32 v26, 16, v26
	v_mov_b32_e32 v35, 0x7fc0
	v_cmp_o_f32_e64 s[4:5], v24, v24
	s_nop 1
	v_cndmask_b32_e64 v24, v35, v26, s[4:5]
	v_and_b32_e32 v26, 0xffff, v24
; %bb.128:
	s_or_b64 exec, exec, s[8:9]
	s_nop 0
	v_mov_b32_dpp v35, v26 row_shr:4 row_mask:0xf bank_mask:0xf
	v_cmp_lt_u32_e64 s[4:5], 3, v34
	s_and_saveexec_b64 s[8:9], s[4:5]
; %bb.129:
	v_lshlrev_b32_e32 v24, 16, v26
	v_lshlrev_b32_e32 v26, 16, v35
	v_add_f32_e32 v24, v26, v24
	v_bfe_u32 v26, v24, 16, 1
	s_movk_i32 s4, 0x7fff
	v_add3_u32 v26, v24, v26, s4
	v_lshrrev_b32_e32 v26, 16, v26
	v_mov_b32_e32 v35, 0x7fc0
	;; [unrolled: 19-line block ×3, first 2 shown]
	v_cmp_o_f32_e64 s[4:5], v24, v24
	s_nop 1
	v_cndmask_b32_e64 v24, v34, v26, s[4:5]
	v_and_b32_e32 v26, 0xffff, v24
; %bb.132:
	s_or_b64 exec, exec, s[8:9]
	v_and_b32_e32 v35, 16, v15
	v_mov_b32_dpp v34, v26 row_bcast:15 row_mask:0xf bank_mask:0xf
	v_cmp_ne_u32_e64 s[4:5], 0, v35
	s_and_saveexec_b64 s[8:9], s[4:5]
; %bb.133:
	v_lshlrev_b32_e32 v24, 16, v26
	v_lshlrev_b32_e32 v26, 16, v34
	v_add_f32_e32 v24, v26, v24
	v_bfe_u32 v26, v24, 16, 1
	s_movk_i32 s4, 0x7fff
	v_add3_u32 v26, v24, v26, s4
	v_lshrrev_b32_e32 v26, 16, v26
	v_mov_b32_e32 v34, 0x7fc0
	v_cmp_o_f32_e64 s[4:5], v24, v24
	s_nop 1
	v_cndmask_b32_e64 v24, v34, v26, s[4:5]
	v_and_b32_e32 v26, 0xffff, v24
; %bb.134:
	s_or_b64 exec, exec, s[8:9]
	s_nop 0
	v_mov_b32_dpp v34, v26 row_bcast:31 row_mask:0xf bank_mask:0xf
	v_cmp_lt_u32_e64 s[4:5], 31, v15
	s_and_saveexec_b64 s[8:9], s[4:5]
; %bb.135:
	v_lshlrev_b32_e32 v24, 16, v26
	v_lshlrev_b32_e32 v26, 16, v34
	v_add_f32_e32 v24, v26, v24
	v_bfe_u32 v26, v24, 16, 1
	s_movk_i32 s4, 0x7fff
	v_add3_u32 v26, v24, v26, s4
	v_lshrrev_b32_e32 v26, 16, v26
	v_mov_b32_e32 v34, 0x7fc0
	v_cmp_o_f32_e64 s[4:5], v24, v24
	s_nop 1
	v_cndmask_b32_e64 v24, v34, v26, s[4:5]
; %bb.136:
	s_or_b64 exec, exec, s[8:9]
	v_or_b32_e32 v34, 63, v0
	v_lshrrev_b32_e32 v26, 6, v0
	v_cmp_eq_u32_e64 s[4:5], v34, v0
	s_and_saveexec_b64 s[8:9], s[4:5]
	s_cbranch_execz .LBB115_138
; %bb.137:
	v_lshlrev_b32_e32 v34, 1, v26
	ds_write_b16 v34, v24
.LBB115_138:
	s_or_b64 exec, exec, s[8:9]
	v_cmp_gt_u32_e64 s[4:5], 4, v0
	s_waitcnt lgkmcnt(0)
	s_barrier
	s_and_saveexec_b64 s[8:9], s[4:5]
	s_cbranch_execz .LBB115_144
; %bb.139:
	ds_read_u16 v34, v14
	v_and_b32_e32 v35, 3, v15
	v_cmp_ne_u32_e64 s[4:5], 0, v35
	s_waitcnt lgkmcnt(0)
	v_and_b32_e32 v36, 0xffff, v34
	s_nop 1
	v_mov_b32_dpp v37, v36 row_shr:1 row_mask:0xf bank_mask:0xf
	s_and_saveexec_b64 s[18:19], s[4:5]
; %bb.140:
	v_lshlrev_b32_e32 v34, 16, v36
	v_lshlrev_b32_e32 v36, 16, v37
	v_add_f32_e32 v34, v36, v34
	v_bfe_u32 v36, v34, 16, 1
	s_movk_i32 s4, 0x7fff
	v_add3_u32 v36, v34, v36, s4
	v_lshrrev_b32_e32 v36, 16, v36
	v_mov_b32_e32 v37, 0x7fc0
	v_cmp_o_f32_e64 s[4:5], v34, v34
	s_nop 1
	v_cndmask_b32_e64 v34, v37, v36, s[4:5]
	v_and_b32_e32 v36, 0xffff, v34
; %bb.141:
	s_or_b64 exec, exec, s[18:19]
	s_nop 0
	v_mov_b32_dpp v37, v36 row_shr:2 row_mask:0xf bank_mask:0xf
	v_cmp_lt_u32_e64 s[4:5], 1, v35
	s_and_saveexec_b64 s[18:19], s[4:5]
; %bb.142:
	v_lshlrev_b32_e32 v34, 16, v36
	v_lshlrev_b32_e32 v35, 16, v37
	v_add_f32_e32 v34, v35, v34
	v_bfe_u32 v35, v34, 16, 1
	s_movk_i32 s4, 0x7fff
	v_add3_u32 v35, v34, v35, s4
	v_lshrrev_b32_e32 v35, 16, v35
	v_mov_b32_e32 v36, 0x7fc0
	v_cmp_o_f32_e64 s[4:5], v34, v34
	s_nop 1
	v_cndmask_b32_e64 v34, v36, v35, s[4:5]
; %bb.143:
	s_or_b64 exec, exec, s[18:19]
	ds_write_b16 v14, v34
.LBB115_144:
	s_or_b64 exec, exec, s[8:9]
	v_cmp_lt_u32_e64 s[4:5], 63, v0
	s_waitcnt lgkmcnt(0)
	s_barrier
	s_waitcnt lgkmcnt(0)
                                        ; implicit-def: $vgpr34
	s_and_saveexec_b64 s[8:9], s[4:5]
	s_cbranch_execz .LBB115_146
; %bb.145:
	v_lshl_add_u32 v26, v26, 1, -2
	ds_read_u16 v34, v26
	v_lshlrev_b32_e32 v24, 16, v24
	s_movk_i32 s4, 0x7fff
	v_mov_b32_e32 v26, 0x7fc0
	s_waitcnt lgkmcnt(0)
	v_lshlrev_b32_e32 v35, 16, v34
	v_add_f32_e32 v24, v35, v24
	v_bfe_u32 v35, v24, 16, 1
	v_add3_u32 v35, v24, v35, s4
	v_lshrrev_b32_e32 v35, 16, v35
	v_cmp_o_f32_e64 s[4:5], v24, v24
	s_nop 1
	v_cndmask_b32_e64 v24, v26, v35, s[4:5]
.LBB115_146:
	s_or_b64 exec, exec, s[8:9]
	v_add_u32_e32 v26, -1, v15
	v_and_b32_e32 v35, 64, v15
	v_cmp_lt_i32_e64 s[4:5], v26, v35
	v_and_b32_e32 v24, 0xffff, v24
	s_nop 0
	v_cndmask_b32_e64 v26, v26, v15, s[4:5]
	v_lshlrev_b32_e32 v26, 2, v26
	ds_bpermute_b32 v24, v26, v24
	s_and_saveexec_b64 s[4:5], s[2:3]
	s_cbranch_execz .LBB115_148
; %bb.147:
	v_cmp_eq_u32_e64 s[2:3], 0, v15
	s_movk_i32 s8, 0x7fff
	v_mov_b32_e32 v19, 0x7fc0
	s_waitcnt lgkmcnt(0)
	v_cndmask_b32_e64 v15, v24, v34, s[2:3]
	v_lshlrev_b32_e32 v15, 16, v15
	v_add_f32_e32 v15, v21, v15
	v_bfe_u32 v16, v15, 16, 1
	v_add3_u32 v16, v15, v16, s8
	v_lshrrev_b32_e32 v16, 16, v16
	v_cmp_o_f32_e64 s[2:3], v15, v15
	s_nop 1
	v_cndmask_b32_e64 v16, v19, v16, s[2:3]
	v_lshlrev_b32_e32 v15, 16, v16
	v_add_f32_e32 v19, v17, v15
	v_bfe_u32 v15, v19, 16, 1
	v_add3_u32 v20, v19, v15, s8
.LBB115_148:
	s_or_b64 exec, exec, s[4:5]
	v_lshrrev_b32_e32 v17, 16, v20
	v_mov_b32_e32 v15, 0x7fc0
	v_cmp_o_f32_e64 s[2:3], v19, v19
	s_movk_i32 s4, 0x7fff
	s_nop 0
	v_cndmask_b32_e64 v17, v15, v17, s[2:3]
	v_lshlrev_b32_e32 v19, 16, v17
	v_add_f32_e32 v18, v18, v19
	v_bfe_u32 v19, v18, 16, 1
	v_add3_u32 v19, v18, v19, s4
	v_lshrrev_b32_e32 v19, 16, v19
	v_cmp_o_f32_e64 s[2:3], v18, v18
	s_nop 1
	v_cndmask_b32_e64 v18, v15, v19, s[2:3]
	v_lshlrev_b32_e32 v19, 16, v18
	v_add_f32_e32 v10, v10, v19
	v_bfe_u32 v19, v10, 16, 1
	v_add3_u32 v19, v10, v19, s4
	v_lshrrev_b32_e32 v19, 16, v19
	v_cmp_o_f32_e64 s[2:3], v10, v10
	;; [unrolled: 8-line block ×6, first 2 shown]
	s_waitcnt lgkmcnt(0)
	s_nop 0
	v_cndmask_b32_e64 v24, v15, v11, s[2:3]
	v_lshlrev_b32_e32 v10, 16, v24
	v_add_f32_e32 v10, v25, v10
	v_bfe_u32 v11, v10, 16, 1
	v_add3_u32 v11, v10, v11, s4
	v_lshrrev_b32_e32 v11, 16, v11
	v_cmp_o_f32_e64 s[2:3], v10, v10
	s_nop 1
	v_cndmask_b32_e64 v25, v15, v11, s[2:3]
	v_lshlrev_b32_e32 v10, 16, v25
	v_add_f32_e32 v6, v6, v10
	v_bfe_u32 v10, v6, 16, 1
	v_add3_u32 v10, v6, v10, s4
	v_lshrrev_b32_e32 v10, 16, v10
	v_cmp_o_f32_e64 s[2:3], v6, v6
	;; [unrolled: 8-line block ×16, first 2 shown]
	s_and_saveexec_b64 s[4:5], vcc
	s_cbranch_execz .LBB115_150
; %bb.149:
	v_mov_b32_e32 v3, 0
	ds_read_u16 v4, v3 offset:6
	s_waitcnt lgkmcnt(0)
	v_or_b32_e32 v4, 0x20000, v4
	global_store_dword v3, v4, s[16:17] offset:256 sc1
.LBB115_150:
	s_or_b64 exec, exec, s[4:5]
	v_cndmask_b32_e64 v39, v15, v2, s[2:3]
.LBB115_151:
	s_add_u32 s2, s6, s14
	s_addc_u32 s3, s7, s15
	s_mov_b64 s[4:5], -1
	s_and_b64 vcc, exec, s[12:13]
	s_waitcnt lgkmcnt(0)
	s_barrier
	s_cbranch_vccz .LBB115_153
; %bb.152:
	s_mov_b32 s4, 0x5040100
	v_perm_b32 v5, v24, v23, s4
	v_perm_b32 v4, v21, v20, s4
	;; [unrolled: 1-line block ×4, first 2 shown]
	ds_write_b128 v1, v[2:5]
	v_perm_b32 v5, v35, v29, s4
	v_perm_b32 v4, v34, v28, s4
	;; [unrolled: 1-line block ×4, first 2 shown]
	ds_write_b128 v1, v[2:5] offset:16
	v_perm_b32 v5, v39, v33, s4
	v_perm_b32 v4, v38, v32, s4
	v_perm_b32 v3, v37, v31, s4
	v_perm_b32 v2, v36, v30, s4
	v_mov_b32_e32 v15, 0
	ds_write_b128 v1, v[2:5] offset:32
	s_waitcnt lgkmcnt(0)
	s_barrier
	ds_read_u16 v4, v14
	ds_read_u16 v5, v14 offset:512
	ds_read_u16 v6, v14 offset:1024
	;; [unrolled: 1-line block ×23, first 2 shown]
	v_lshl_add_u64 v[2:3], s[2:3], 0, v[14:15]
	s_movk_i32 s4, 0x1000
	s_waitcnt lgkmcnt(14)
	global_store_short v14, v4, s[2:3]
	global_store_short v14, v5, s[2:3] offset:512
	global_store_short v14, v6, s[2:3] offset:1024
	;; [unrolled: 1-line block ×7, first 2 shown]
	v_add_co_u32_e32 v4, vcc, s4, v2
	s_mov_b64 s[4:5], 0
	s_nop 0
	v_addc_co_u32_e32 v5, vcc, 0, v3, vcc
	v_add_co_u32_e32 v2, vcc, 0x2000, v2
	global_store_short v[4:5], v12, off
	global_store_short v[4:5], v13, off offset:512
	s_waitcnt lgkmcnt(13)
	global_store_short v[4:5], v40, off offset:1024
	s_waitcnt lgkmcnt(12)
	;; [unrolled: 2-line block ×6, first 2 shown]
	global_store_short v[4:5], v45, off offset:3584
	v_addc_co_u32_e32 v3, vcc, 0, v3, vcc
	s_waitcnt lgkmcnt(7)
	global_store_short v[2:3], v47, off
	s_waitcnt lgkmcnt(6)
	global_store_short v[2:3], v48, off offset:512
	s_waitcnt lgkmcnt(5)
	global_store_short v[2:3], v49, off offset:1024
	;; [unrolled: 2-line block ×7, first 2 shown]
.LBB115_153:
	s_andn2_b64 vcc, exec, s[4:5]
	s_cbranch_vccnz .LBB115_210
; %bb.154:
	s_mov_b32 s4, 0x5040100
	v_perm_b32 v5, v24, v23, s4
	v_perm_b32 v4, v21, v20, s4
	v_perm_b32 v3, v19, v18, s4
	v_perm_b32 v2, v17, v16, s4
	ds_write_b128 v1, v[2:5]
	v_perm_b32 v5, v35, v29, s4
	v_perm_b32 v4, v34, v28, s4
	;; [unrolled: 1-line block ×4, first 2 shown]
	ds_write_b128 v1, v[2:5] offset:16
	v_perm_b32 v5, v39, v33, s4
	v_perm_b32 v4, v38, v32, s4
	;; [unrolled: 1-line block ×4, first 2 shown]
	ds_write_b128 v1, v[2:5] offset:32
	s_waitcnt lgkmcnt(0)
	s_barrier
	ds_read_u16 v5, v14
	ds_read_u16 v4, v14 offset:512
	ds_read_u16 v7, v14 offset:1024
	;; [unrolled: 1-line block ×23, first 2 shown]
	v_mov_b32_e32 v15, 0
	v_lshl_add_u64 v[2:3], s[2:3], 0, v[14:15]
	v_cmp_gt_u32_e32 vcc, s20, v0
	s_and_saveexec_b64 s[2:3], vcc
	s_cbranch_execz .LBB115_156
; %bb.155:
	s_waitcnt lgkmcnt(14)
	global_store_short v[2:3], v5, off
.LBB115_156:
	s_or_b64 exec, exec, s[2:3]
	v_or_b32_e32 v1, 0x100, v0
	v_cmp_gt_u32_e32 vcc, s20, v1
	s_and_saveexec_b64 s[2:3], vcc
	s_cbranch_execz .LBB115_158
; %bb.157:
	s_waitcnt lgkmcnt(14)
	global_store_short v[2:3], v4, off offset:512
.LBB115_158:
	s_or_b64 exec, exec, s[2:3]
	v_or_b32_e32 v1, 0x200, v0
	v_cmp_gt_u32_e32 vcc, s20, v1
	s_and_saveexec_b64 s[2:3], vcc
	s_cbranch_execz .LBB115_160
; %bb.159:
	s_waitcnt lgkmcnt(14)
	global_store_short v[2:3], v7, off offset:1024
.LBB115_160:
	;; [unrolled: 9-line block ×7, first 2 shown]
	s_or_b64 exec, exec, s[2:3]
	v_or_b32_e32 v1, 0x800, v0
	v_cmp_gt_u32_e32 vcc, s20, v1
	s_and_saveexec_b64 s[2:3], vcc
	s_cbranch_execz .LBB115_172
; %bb.171:
	v_add_co_u32_e32 v32, vcc, 0x1000, v2
	s_nop 1
	v_addc_co_u32_e32 v33, vcc, 0, v3, vcc
	s_waitcnt lgkmcnt(14)
	global_store_short v[32:33], v18, off
.LBB115_172:
	s_or_b64 exec, exec, s[2:3]
	v_or_b32_e32 v1, 0x900, v0
	v_cmp_gt_u32_e32 vcc, s20, v1
	s_and_saveexec_b64 s[2:3], vcc
	s_cbranch_execz .LBB115_174
; %bb.173:
	v_add_co_u32_e32 v32, vcc, 0x1000, v2
	s_nop 1
	v_addc_co_u32_e32 v33, vcc, 0, v3, vcc
	s_waitcnt lgkmcnt(14)
	global_store_short v[32:33], v26, off offset:512
.LBB115_174:
	s_or_b64 exec, exec, s[2:3]
	v_or_b32_e32 v1, 0xa00, v0
	v_cmp_gt_u32_e32 vcc, s20, v1
	s_and_saveexec_b64 s[2:3], vcc
	s_cbranch_execz .LBB115_176
; %bb.175:
	v_add_co_u32_e32 v32, vcc, 0x1000, v2
	s_nop 1
	v_addc_co_u32_e32 v33, vcc, 0, v3, vcc
	s_waitcnt lgkmcnt(13)
	global_store_short v[32:33], v23, off offset:1024
.LBB115_176:
	;; [unrolled: 12-line block ×7, first 2 shown]
	s_or_b64 exec, exec, s[2:3]
	v_or_b32_e32 v1, 0x1000, v0
	v_cmp_gt_u32_e32 vcc, s20, v1
	s_and_saveexec_b64 s[2:3], vcc
	s_cbranch_execz .LBB115_188
; %bb.187:
	v_add_co_u32_e32 v32, vcc, 0x2000, v2
	s_nop 1
	v_addc_co_u32_e32 v33, vcc, 0, v3, vcc
	s_waitcnt lgkmcnt(7)
	global_store_short v[32:33], v25, off
.LBB115_188:
	s_or_b64 exec, exec, s[2:3]
	v_or_b32_e32 v1, 0x1100, v0
	v_cmp_gt_u32_e32 vcc, s20, v1
	s_and_saveexec_b64 s[2:3], vcc
	s_cbranch_execz .LBB115_190
; %bb.189:
	v_add_co_u32_e32 v32, vcc, 0x2000, v2
	s_nop 1
	v_addc_co_u32_e32 v33, vcc, 0, v3, vcc
	s_waitcnt lgkmcnt(6)
	global_store_short v[32:33], v28, off offset:512
.LBB115_190:
	s_or_b64 exec, exec, s[2:3]
	v_or_b32_e32 v1, 0x1200, v0
	v_cmp_gt_u32_e32 vcc, s20, v1
	s_and_saveexec_b64 s[2:3], vcc
	s_cbranch_execz .LBB115_192
; %bb.191:
	v_add_co_u32_e32 v32, vcc, 0x2000, v2
	s_nop 1
	v_addc_co_u32_e32 v33, vcc, 0, v3, vcc
	s_waitcnt lgkmcnt(5)
	global_store_short v[32:33], v27, off offset:1024
.LBB115_192:
	;; [unrolled: 12-line block ×7, first 2 shown]
	s_or_b64 exec, exec, s[2:3]
	s_load_dword s0, s[0:1], 0x40
	s_waitcnt lgkmcnt(0)
	s_bfe_u32 s0, s0, 0x10008
	s_cmp_eq_u32 s0, 0
	s_cbranch_scc1 .LBB115_210
; %bb.203:
	s_add_u32 s0, s20, -1
	s_addc_u32 s1, s21, -1
	s_add_u32 s2, 0, 0xaaaa0000
	s_addc_u32 s3, 0, 42
	s_add_i32 s3, s3, 0xaaaaa80
	s_mul_hi_u32 s7, s2, 0xffffffe8
	s_sub_i32 s7, s7, s2
	s_mul_i32 s8, s3, 0xffffffe8
	s_mul_i32 s4, s2, 0xffffffe8
	s_add_i32 s7, s7, s8
	s_mul_hi_u32 s5, s3, s4
	s_mul_i32 s6, s3, s4
	s_mul_i32 s9, s2, s7
	s_mul_hi_u32 s4, s2, s4
	s_mul_hi_u32 s8, s2, s7
	s_add_u32 s4, s4, s9
	s_addc_u32 s8, 0, s8
	s_add_u32 s4, s4, s6
	s_mul_hi_u32 s9, s3, s7
	s_addc_u32 s4, s8, s5
	s_addc_u32 s5, s9, 0
	s_mul_i32 s6, s3, s7
	s_add_u32 s4, s4, s6
	v_mov_b32_e32 v2, s4
	s_addc_u32 s5, 0, s5
	v_add_co_u32_e32 v2, vcc, s2, v2
	s_cmp_lg_u64 vcc, 0
	s_addc_u32 s2, s3, s5
	v_readfirstlane_b32 s5, v2
	s_mul_i32 s4, s0, s2
	s_mul_hi_u32 s6, s0, s5
	s_mul_hi_u32 s3, s0, s2
	s_add_u32 s4, s6, s4
	s_addc_u32 s3, 0, s3
	s_mul_hi_u32 s7, s1, s5
	s_mul_i32 s5, s1, s5
	s_add_u32 s4, s4, s5
	s_mul_hi_u32 s6, s1, s2
	s_addc_u32 s3, s3, s7
	s_addc_u32 s4, s6, 0
	s_mul_i32 s2, s1, s2
	s_add_u32 s2, s3, s2
	s_addc_u32 s3, 0, s4
	s_add_u32 s4, s2, 1
	s_addc_u32 s5, s3, 0
	s_add_u32 s6, s2, 2
	s_mul_i32 s8, s3, 24
	s_mul_hi_u32 s9, s2, 24
	s_addc_u32 s7, s3, 0
	s_add_i32 s9, s9, s8
	s_mul_i32 s8, s2, 24
	v_mov_b32_e32 v2, s8
	v_sub_co_u32_e32 v2, vcc, s0, v2
	s_cmp_lg_u64 vcc, 0
	s_subb_u32 s8, s1, s9
	v_subrev_co_u32_e32 v3, vcc, 24, v2
	s_cmp_lg_u64 vcc, 0
	s_subb_u32 s9, s8, 0
	v_readfirstlane_b32 s12, v3
	s_cmp_gt_u32 s12, 23
	s_cselect_b32 s12, -1, 0
	s_cmp_eq_u32 s9, 0
	s_cselect_b32 s9, s12, -1
	s_cmp_lg_u32 s9, 0
	s_cselect_b32 s4, s6, s4
	v_readfirstlane_b32 s6, v2
	s_cselect_b32 s5, s7, s5
	s_cmp_gt_u32 s6, 23
	s_cselect_b32 s6, -1, 0
	s_cmp_eq_u32 s8, 0
	s_cselect_b32 s6, s6, -1
	s_cmp_lg_u32 s6, 0
	v_mov_b32_e32 v1, v15
	s_cselect_b32 s3, s5, s3
	s_cselect_b32 s2, s4, s2
	v_cmp_eq_u64_e32 vcc, s[2:3], v[0:1]
	s_and_saveexec_b64 s[2:3], vcc
	s_cbranch_execz .LBB115_210
; %bb.204:
	v_mul_hi_u32_u24_e32 v1, 24, v0
	v_mov_b32_e32 v2, s1
	v_sub_co_u32_e32 v0, vcc, s0, v22
	s_mov_b64 s[0:1], 0
	s_nop 0
	v_subb_co_u32_e32 v1, vcc, v2, v1, vcc
	v_cmp_lt_i64_e32 vcc, 11, v[0:1]
	s_mov_b64 s[8:9], 0
	s_mov_b64 s[6:7], 0
	;; [unrolled: 1-line block ×3, first 2 shown]
	s_and_saveexec_b64 s[2:3], vcc
	s_xor_b64 s[2:3], exec, s[2:3]
	s_cbranch_execnz .LBB115_211
; %bb.205:
	s_andn2_saveexec_b64 s[2:3], s[2:3]
	s_cbranch_execnz .LBB115_256
.LBB115_206:
	s_or_b64 exec, exec, s[2:3]
	s_and_saveexec_b64 s[2:3], s[8:9]
	s_cbranch_execnz .LBB115_273
.LBB115_207:
	s_or_b64 exec, exec, s[2:3]
	s_and_saveexec_b64 s[2:3], s[6:7]
	s_cbranch_execnz .LBB115_274
.LBB115_208:
	s_or_b64 exec, exec, s[2:3]
	s_and_saveexec_b64 s[2:3], s[4:5]
	s_xor_b64 s[2:3], exec, s[2:3]
	s_cbranch_execnz .LBB115_275
.LBB115_209:
	s_or_b64 exec, exec, s[2:3]
	s_and_b64 exec, exec, s[0:1]
	s_cbranch_execnz .LBB115_276
.LBB115_210:
	s_endpgm
.LBB115_211:
	v_cmp_lt_i64_e32 vcc, 17, v[0:1]
	s_and_saveexec_b64 s[12:13], vcc
	s_xor_b64 s[12:13], exec, s[12:13]
	s_cbranch_execz .LBB115_233
; %bb.212:
	v_cmp_lt_i64_e32 vcc, 20, v[0:1]
                                        ; implicit-def: $vgpr10
	s_and_saveexec_b64 s[14:15], vcc
	s_xor_b64 s[14:15], exec, s[14:15]
	s_cbranch_execz .LBB115_222
; %bb.213:
	v_cmp_lt_i64_e32 vcc, 21, v[0:1]
	s_mov_b64 s[16:17], 0
                                        ; implicit-def: $vgpr10
	s_and_saveexec_b64 s[4:5], vcc
	s_xor_b64 s[4:5], exec, s[4:5]
	s_cbranch_execz .LBB115_219
; %bb.214:
	v_cmp_lt_i64_e32 vcc, 22, v[0:1]
	s_and_saveexec_b64 s[16:17], vcc
	s_xor_b64 s[16:17], exec, s[16:17]
	s_cbranch_execz .LBB115_216
; %bb.215:
	v_mov_b32_e32 v2, 0
	global_store_short v2, v30, s[10:11]
                                        ; implicit-def: $vgpr29
.LBB115_216:
	s_or_saveexec_b64 s[16:17], s[16:17]
	s_mov_b64 s[18:19], 0
	s_xor_b64 exec, exec, s[16:17]
; %bb.217:
	s_mov_b64 s[18:19], exec
; %bb.218:
	s_or_b64 exec, exec, s[16:17]
	s_and_b64 s[16:17], s[18:19], exec
	v_mov_b32_e32 v10, v29
                                        ; implicit-def: $vgpr11
.LBB115_219:
	s_andn2_saveexec_b64 s[4:5], s[4:5]
; %bb.220:
	s_mov_b64 s[6:7], exec
                                        ; implicit-def: $vgpr10
; %bb.221:
	s_or_b64 exec, exec, s[4:5]
	s_and_b64 s[4:5], s[16:17], exec
	s_and_b64 s[6:7], s[6:7], exec
                                        ; implicit-def: $vgpr27
                                        ; implicit-def: $vgpr12
                                        ; implicit-def: $vgpr24
.LBB115_222:
	s_andn2_saveexec_b64 s[14:15], s[14:15]
	s_cbranch_execz .LBB115_232
; %bb.223:
	v_cmp_lt_i64_e32 vcc, 18, v[0:1]
	s_mov_b64 s[16:17], 0
	s_and_saveexec_b64 s[8:9], vcc
	s_xor_b64 s[8:9], exec, s[8:9]
	s_cbranch_execz .LBB115_229
; %bb.224:
	v_cmp_lt_i64_e32 vcc, 19, v[0:1]
	s_and_saveexec_b64 s[18:19], vcc
	s_xor_b64 s[18:19], exec, s[18:19]
; %bb.225:
	s_mov_b64 s[16:17], exec
                                        ; implicit-def: $vgpr24
; %bb.226:
	s_andn2_saveexec_b64 s[18:19], s[18:19]
	s_cbranch_execz .LBB115_228
; %bb.227:
	v_mov_b32_e32 v2, 0
	global_store_short v2, v24, s[10:11]
                                        ; implicit-def: $vgpr12
.LBB115_228:
	s_or_b64 exec, exec, s[18:19]
	s_and_b64 s[16:17], s[16:17], exec
                                        ; implicit-def: $vgpr27
.LBB115_229:
	s_andn2_saveexec_b64 s[8:9], s[8:9]
	s_cbranch_execz .LBB115_231
; %bb.230:
	v_mov_b32_e32 v2, 0
	global_store_short v2, v27, s[10:11]
                                        ; implicit-def: $vgpr12
.LBB115_231:
	s_or_b64 exec, exec, s[8:9]
	s_and_b64 s[8:9], s[16:17], exec
                                        ; implicit-def: $vgpr10
                                        ; implicit-def: $vgpr11
.LBB115_232:
	s_or_b64 exec, exec, s[14:15]
	s_and_b64 s[4:5], s[4:5], exec
	s_and_b64 s[6:7], s[6:7], exec
	;; [unrolled: 1-line block ×3, first 2 shown]
                                        ; implicit-def: $vgpr20
                                        ; implicit-def: $vgpr13
                                        ; implicit-def: $vgpr16
                                        ; implicit-def: $vgpr25
                                        ; implicit-def: $vgpr28
.LBB115_233:
	s_andn2_saveexec_b64 s[12:13], s[12:13]
	s_cbranch_execz .LBB115_255
; %bb.234:
	v_cmp_lt_i64_e32 vcc, 14, v[0:1]
	s_mov_b64 s[14:15], s[4:5]
	s_and_saveexec_b64 s[16:17], vcc
	s_xor_b64 s[16:17], exec, s[16:17]
	s_cbranch_execz .LBB115_244
; %bb.235:
	v_cmp_lt_i64_e32 vcc, 15, v[0:1]
	s_and_saveexec_b64 s[14:15], vcc
	s_xor_b64 s[14:15], exec, s[14:15]
	s_cbranch_execz .LBB115_241
; %bb.236:
	v_cmp_lt_i64_e32 vcc, 16, v[0:1]
	s_and_saveexec_b64 s[18:19], vcc
	s_xor_b64 s[18:19], exec, s[18:19]
	s_cbranch_execz .LBB115_238
; %bb.237:
	v_mov_b32_e32 v2, 0
	global_store_short v2, v28, s[10:11]
                                        ; implicit-def: $vgpr25
.LBB115_238:
	s_andn2_saveexec_b64 s[18:19], s[18:19]
	s_cbranch_execz .LBB115_240
; %bb.239:
	v_mov_b32_e32 v2, 0
	global_store_short v2, v25, s[10:11]
.LBB115_240:
	s_or_b64 exec, exec, s[18:19]
                                        ; implicit-def: $vgpr10
.LBB115_241:
	s_or_saveexec_b64 s[14:15], s[14:15]
	s_mov_b64 s[18:19], s[4:5]
	s_xor_b64 exec, exec, s[14:15]
; %bb.242:
	s_or_b64 s[18:19], s[4:5], exec
; %bb.243:
	s_or_b64 exec, exec, s[14:15]
	s_andn2_b64 s[14:15], s[4:5], exec
	s_and_b64 s[18:19], s[18:19], exec
	s_or_b64 s[14:15], s[14:15], s[18:19]
                                        ; implicit-def: $vgpr20
                                        ; implicit-def: $vgpr13
                                        ; implicit-def: $vgpr16
.LBB115_244:
	s_or_saveexec_b64 s[16:17], s[16:17]
	s_mov_b64 s[18:19], s[6:7]
                                        ; implicit-def: $vgpr11
	s_xor_b64 exec, exec, s[16:17]
	s_cbranch_execz .LBB115_254
; %bb.245:
	v_cmp_lt_i64_e32 vcc, 12, v[0:1]
	s_mov_b64 s[20:21], s[6:7]
	s_mov_b64 s[22:23], s[14:15]
                                        ; implicit-def: $vgpr10
                                        ; implicit-def: $vgpr11
	s_and_saveexec_b64 s[18:19], vcc
	s_xor_b64 s[18:19], exec, s[18:19]
	s_cbranch_execz .LBB115_251
; %bb.246:
	v_cmp_lt_i64_e32 vcc, 13, v[0:1]
	s_mov_b64 s[20:21], s[14:15]
	s_and_saveexec_b64 s[22:23], vcc
	s_xor_b64 s[22:23], exec, s[22:23]
; %bb.247:
	s_or_b64 s[20:21], s[14:15], exec
                                        ; implicit-def: $vgpr13
; %bb.248:
	s_or_saveexec_b64 s[22:23], s[22:23]
	s_mov_b64 s[24:25], s[6:7]
	s_xor_b64 exec, exec, s[22:23]
; %bb.249:
	s_or_b64 s[24:25], s[6:7], exec
                                        ; implicit-def: $vgpr16
; %bb.250:
	s_or_b64 exec, exec, s[22:23]
	s_andn2_b64 s[22:23], s[14:15], exec
	s_and_b64 s[20:21], s[20:21], exec
	s_or_b64 s[22:23], s[22:23], s[20:21]
	s_andn2_b64 s[20:21], s[6:7], exec
	s_and_b64 s[24:25], s[24:25], exec
	s_or_b64 s[20:21], s[20:21], s[24:25]
	v_mov_b32_e32 v10, v16
	v_mov_b32_e32 v11, v13
                                        ; implicit-def: $vgpr20
.LBB115_251:
	s_andn2_saveexec_b64 s[18:19], s[18:19]
; %bb.252:
	s_or_b64 s[20:21], s[20:21], exec
                                        ; implicit-def: $vgpr10
	v_mov_b32_e32 v11, v20
; %bb.253:
	s_or_b64 exec, exec, s[18:19]
	s_andn2_b64 s[14:15], s[14:15], exec
	s_and_b64 s[18:19], s[22:23], exec
	s_or_b64 s[14:15], s[14:15], s[18:19]
	s_andn2_b64 s[18:19], s[6:7], exec
	s_and_b64 s[20:21], s[20:21], exec
	s_or_b64 s[18:19], s[18:19], s[20:21]
.LBB115_254:
	s_or_b64 exec, exec, s[16:17]
	s_andn2_b64 s[4:5], s[4:5], exec
	s_and_b64 s[14:15], s[14:15], exec
	s_or_b64 s[4:5], s[4:5], s[14:15]
	s_andn2_b64 s[6:7], s[6:7], exec
	s_and_b64 s[14:15], s[18:19], exec
	s_or_b64 s[6:7], s[6:7], s[14:15]
                                        ; implicit-def: $vgpr12
.LBB115_255:
	s_or_b64 exec, exec, s[12:13]
	s_and_b64 s[4:5], s[4:5], exec
	s_and_b64 s[6:7], s[6:7], exec
	;; [unrolled: 1-line block ×3, first 2 shown]
                                        ; implicit-def: $vgpr19
                                        ; implicit-def: $vgpr17
                                        ; implicit-def: $vgpr18
                                        ; implicit-def: $vgpr26
                                        ; implicit-def: $vgpr23
                                        ; implicit-def: $vgpr21
	s_andn2_saveexec_b64 s[2:3], s[2:3]
	s_cbranch_execz .LBB115_206
.LBB115_256:
	v_cmp_lt_i64_e32 vcc, 5, v[0:1]
	s_mov_b64 s[14:15], -1
	s_mov_b64 s[12:13], s[8:9]
	s_mov_b64 s[16:17], s[6:7]
	;; [unrolled: 1-line block ×3, first 2 shown]
                                        ; implicit-def: $vgpr10
                                        ; implicit-def: $vgpr11
                                        ; implicit-def: $vgpr12
	s_and_saveexec_b64 s[0:1], vcc
	s_cbranch_execz .LBB115_272
; %bb.257:
	v_cmp_lt_i64_e32 vcc, 8, v[0:1]
	s_mov_b64 s[12:13], s[8:9]
                                        ; implicit-def: $vgpr12
	s_and_saveexec_b64 s[14:15], vcc
	s_xor_b64 s[14:15], exec, s[14:15]
	s_cbranch_execz .LBB115_267
; %bb.258:
	v_cmp_lt_i64_e32 vcc, 9, v[0:1]
	s_and_saveexec_b64 s[12:13], vcc
	s_xor_b64 s[12:13], exec, s[12:13]
	s_cbranch_execz .LBB115_264
; %bb.259:
	v_cmp_lt_i64_e32 vcc, 10, v[0:1]
	s_and_saveexec_b64 s[16:17], vcc
	s_xor_b64 s[16:17], exec, s[16:17]
; %bb.260:
                                        ; implicit-def: $vgpr23
; %bb.261:
	s_andn2_saveexec_b64 s[16:17], s[16:17]
; %bb.262:
	v_mov_b32_e32 v21, v23
; %bb.263:
	s_or_b64 exec, exec, s[16:17]
                                        ; implicit-def: $vgpr26
.LBB115_264:
	s_andn2_saveexec_b64 s[12:13], s[12:13]
; %bb.265:
	v_mov_b32_e32 v21, v26
; %bb.266:
	s_or_b64 exec, exec, s[12:13]
	s_or_b64 s[12:13], s[8:9], exec
	v_mov_b32_e32 v12, v21
                                        ; implicit-def: $vgpr19
                                        ; implicit-def: $vgpr17
                                        ; implicit-def: $vgpr18
.LBB115_267:
	s_or_saveexec_b64 s[14:15], s[14:15]
	s_mov_b64 s[16:17], s[6:7]
	s_mov_b64 s[20:21], s[4:5]
                                        ; implicit-def: $vgpr10
                                        ; implicit-def: $vgpr11
	s_xor_b64 exec, exec, s[14:15]
	s_cbranch_execz .LBB115_271
; %bb.268:
	v_cmp_lt_i64_e32 vcc, 6, v[0:1]
	s_mov_b64 s[20:21], -1
	s_mov_b64 s[18:19], s[12:13]
	s_mov_b64 s[16:17], s[6:7]
	s_and_saveexec_b64 s[22:23], vcc
; %bb.269:
	v_cmp_lt_i64_e32 vcc, 7, v[0:1]
	s_andn2_b64 s[18:19], s[12:13], exec
	s_and_b64 s[24:25], vcc, exec
	s_xor_b64 s[20:21], exec, -1
	s_or_b64 s[16:17], s[6:7], exec
	s_or_b64 s[18:19], s[18:19], s[24:25]
                                        ; implicit-def: $vgpr19
; %bb.270:
	s_or_b64 exec, exec, s[22:23]
	s_andn2_b64 s[22:23], s[4:5], exec
	s_and_b64 s[20:21], s[20:21], exec
	s_or_b64 s[20:21], s[22:23], s[20:21]
	s_andn2_b64 s[22:23], s[6:7], exec
	s_and_b64 s[16:17], s[16:17], exec
	s_andn2_b64 s[12:13], s[12:13], exec
	s_and_b64 s[18:19], s[18:19], exec
	s_or_b64 s[16:17], s[22:23], s[16:17]
	s_or_b64 s[12:13], s[12:13], s[18:19]
	v_mov_b32_e32 v10, v19
	v_mov_b32_e32 v11, v17
	v_mov_b32_e32 v12, v18
.LBB115_271:
	s_or_b64 exec, exec, s[14:15]
	s_andn2_b64 s[18:19], s[4:5], exec
	s_and_b64 s[20:21], s[20:21], exec
	s_or_b64 s[18:19], s[18:19], s[20:21]
	s_andn2_b64 s[20:21], s[6:7], exec
	s_and_b64 s[16:17], s[16:17], exec
	s_or_b64 s[16:17], s[20:21], s[16:17]
	s_andn2_b64 s[20:21], s[8:9], exec
	s_and_b64 s[12:13], s[12:13], exec
	s_xor_b64 s[14:15], exec, -1
	s_or_b64 s[12:13], s[20:21], s[12:13]
.LBB115_272:
	s_or_b64 exec, exec, s[0:1]
	s_and_b64 s[0:1], s[14:15], exec
	s_andn2_b64 s[4:5], s[4:5], exec
	s_and_b64 s[14:15], s[18:19], exec
	s_or_b64 s[4:5], s[4:5], s[14:15]
	s_andn2_b64 s[6:7], s[6:7], exec
	s_and_b64 s[14:15], s[16:17], exec
	s_andn2_b64 s[8:9], s[8:9], exec
	s_and_b64 s[12:13], s[12:13], exec
	s_or_b64 s[6:7], s[6:7], s[14:15]
	s_or_b64 s[8:9], s[8:9], s[12:13]
	s_or_b64 exec, exec, s[2:3]
	s_and_saveexec_b64 s[2:3], s[8:9]
	s_cbranch_execz .LBB115_207
.LBB115_273:
	v_mov_b32_e32 v2, 0
	s_andn2_b64 s[6:7], s[6:7], exec
	global_store_short v2, v12, s[10:11]
                                        ; implicit-def: $vgpr10
                                        ; implicit-def: $vgpr11
	s_or_b64 exec, exec, s[2:3]
	s_and_saveexec_b64 s[2:3], s[6:7]
	s_cbranch_execz .LBB115_208
.LBB115_274:
	v_mov_b32_e32 v2, 0
	global_store_short v2, v11, s[10:11]
                                        ; implicit-def: $vgpr10
	s_or_b64 exec, exec, s[2:3]
	s_and_saveexec_b64 s[2:3], s[4:5]
	s_xor_b64 s[2:3], exec, s[2:3]
	s_cbranch_execz .LBB115_209
.LBB115_275:
	v_mov_b32_e32 v2, 0
	global_store_short v2, v10, s[10:11]
	s_or_b64 exec, exec, s[2:3]
	s_and_b64 exec, exec, s[0:1]
	s_cbranch_execz .LBB115_210
.LBB115_276:
	v_cmp_lt_i64_e32 vcc, 2, v[0:1]
	s_and_saveexec_b64 s[0:1], vcc
	s_xor_b64 s[0:1], exec, s[0:1]
	s_cbranch_execz .LBB115_286
; %bb.277:
	v_cmp_lt_i64_e32 vcc, 3, v[0:1]
	s_and_saveexec_b64 s[2:3], vcc
	s_xor_b64 s[2:3], exec, s[2:3]
	s_cbranch_execz .LBB115_283
; %bb.278:
	;; [unrolled: 5-line block ×3, first 2 shown]
	v_mov_b32_e32 v0, 0
	global_store_short v0, v9, s[10:11]
                                        ; implicit-def: $vgpr6
.LBB115_280:
	s_andn2_saveexec_b64 s[4:5], s[4:5]
	s_cbranch_execz .LBB115_282
; %bb.281:
	v_mov_b32_e32 v0, 0
	global_store_short v0, v6, s[10:11]
.LBB115_282:
	s_or_b64 exec, exec, s[4:5]
                                        ; implicit-def: $vgpr8
.LBB115_283:
	s_andn2_saveexec_b64 s[2:3], s[2:3]
	s_cbranch_execz .LBB115_285
; %bb.284:
	v_mov_b32_e32 v0, 0
	global_store_short v0, v8, s[10:11]
.LBB115_285:
	s_or_b64 exec, exec, s[2:3]
                                        ; implicit-def: $vgpr0_vgpr1
                                        ; implicit-def: $vgpr7
                                        ; implicit-def: $vgpr4
                                        ; implicit-def: $vgpr5
.LBB115_286:
	s_andn2_saveexec_b64 s[0:1], s[0:1]
	s_cbranch_execz .LBB115_210
; %bb.287:
	v_cmp_lt_i64_e32 vcc, 1, v[0:1]
	s_and_saveexec_b64 s[0:1], vcc
	s_xor_b64 s[0:1], exec, s[0:1]
	s_cbranch_execz .LBB115_289
; %bb.288:
	v_mov_b32_e32 v0, 0
	global_store_short v0, v7, s[10:11]
                                        ; implicit-def: $vgpr4
                                        ; implicit-def: $vgpr0_vgpr1
                                        ; implicit-def: $vgpr5
.LBB115_289:
	s_andn2_saveexec_b64 s[0:1], s[0:1]
	s_cbranch_execz .LBB115_210
; %bb.290:
	v_cmp_ne_u64_e32 vcc, 1, v[0:1]
	s_and_saveexec_b64 s[0:1], vcc
	s_xor_b64 s[0:1], exec, s[0:1]
	s_cbranch_execz .LBB115_292
; %bb.291:
	v_mov_b32_e32 v0, 0
	global_store_short v0, v5, s[10:11]
                                        ; implicit-def: $vgpr4
.LBB115_292:
	s_andn2_saveexec_b64 s[0:1], s[0:1]
	s_cbranch_execz .LBB115_210
; %bb.293:
	v_mov_b32_e32 v0, 0
	global_store_short v0, v4, s[10:11]
	s_endpgm
	.section	.rodata,"a",@progbits
	.p2align	6, 0x0
	.amdhsa_kernel _ZN7rocprim17ROCPRIM_304000_NS6detail20lookback_scan_kernelILNS1_25lookback_scan_determinismE0ELb0ENS1_19wrapped_scan_configINS0_14default_configEN3c108BFloat16EEEPKS7_PS7_St4plusIS7_ES7_S7_NS1_19lookback_scan_stateIS7_Lb0ELb1EEEEEvT2_T3_mT5_T4_T7_jPT6_SM_bb
		.amdhsa_group_segment_fixed_size 12288
		.amdhsa_private_segment_fixed_size 0
		.amdhsa_kernarg_size 68
		.amdhsa_user_sgpr_count 2
		.amdhsa_user_sgpr_dispatch_ptr 0
		.amdhsa_user_sgpr_queue_ptr 0
		.amdhsa_user_sgpr_kernarg_segment_ptr 1
		.amdhsa_user_sgpr_dispatch_id 0
		.amdhsa_user_sgpr_kernarg_preload_length 0
		.amdhsa_user_sgpr_kernarg_preload_offset 0
		.amdhsa_user_sgpr_private_segment_size 0
		.amdhsa_uses_dynamic_stack 0
		.amdhsa_enable_private_segment 0
		.amdhsa_system_sgpr_workgroup_id_x 1
		.amdhsa_system_sgpr_workgroup_id_y 0
		.amdhsa_system_sgpr_workgroup_id_z 0
		.amdhsa_system_sgpr_workgroup_info 0
		.amdhsa_system_vgpr_workitem_id 0
		.amdhsa_next_free_vgpr 69
		.amdhsa_next_free_sgpr 26
		.amdhsa_accum_offset 72
		.amdhsa_reserve_vcc 1
		.amdhsa_float_round_mode_32 0
		.amdhsa_float_round_mode_16_64 0
		.amdhsa_float_denorm_mode_32 3
		.amdhsa_float_denorm_mode_16_64 3
		.amdhsa_dx10_clamp 1
		.amdhsa_ieee_mode 1
		.amdhsa_fp16_overflow 0
		.amdhsa_tg_split 0
		.amdhsa_exception_fp_ieee_invalid_op 0
		.amdhsa_exception_fp_denorm_src 0
		.amdhsa_exception_fp_ieee_div_zero 0
		.amdhsa_exception_fp_ieee_overflow 0
		.amdhsa_exception_fp_ieee_underflow 0
		.amdhsa_exception_fp_ieee_inexact 0
		.amdhsa_exception_int_div_zero 0
	.end_amdhsa_kernel
	.section	.text._ZN7rocprim17ROCPRIM_304000_NS6detail20lookback_scan_kernelILNS1_25lookback_scan_determinismE0ELb0ENS1_19wrapped_scan_configINS0_14default_configEN3c108BFloat16EEEPKS7_PS7_St4plusIS7_ES7_S7_NS1_19lookback_scan_stateIS7_Lb0ELb1EEEEEvT2_T3_mT5_T4_T7_jPT6_SM_bb,"axG",@progbits,_ZN7rocprim17ROCPRIM_304000_NS6detail20lookback_scan_kernelILNS1_25lookback_scan_determinismE0ELb0ENS1_19wrapped_scan_configINS0_14default_configEN3c108BFloat16EEEPKS7_PS7_St4plusIS7_ES7_S7_NS1_19lookback_scan_stateIS7_Lb0ELb1EEEEEvT2_T3_mT5_T4_T7_jPT6_SM_bb,comdat
.Lfunc_end115:
	.size	_ZN7rocprim17ROCPRIM_304000_NS6detail20lookback_scan_kernelILNS1_25lookback_scan_determinismE0ELb0ENS1_19wrapped_scan_configINS0_14default_configEN3c108BFloat16EEEPKS7_PS7_St4plusIS7_ES7_S7_NS1_19lookback_scan_stateIS7_Lb0ELb1EEEEEvT2_T3_mT5_T4_T7_jPT6_SM_bb, .Lfunc_end115-_ZN7rocprim17ROCPRIM_304000_NS6detail20lookback_scan_kernelILNS1_25lookback_scan_determinismE0ELb0ENS1_19wrapped_scan_configINS0_14default_configEN3c108BFloat16EEEPKS7_PS7_St4plusIS7_ES7_S7_NS1_19lookback_scan_stateIS7_Lb0ELb1EEEEEvT2_T3_mT5_T4_T7_jPT6_SM_bb
                                        ; -- End function
	.section	.AMDGPU.csdata,"",@progbits
; Kernel info:
; codeLenInByte = 14476
; NumSgprs: 32
; NumVgprs: 69
; NumAgprs: 0
; TotalNumVgprs: 69
; ScratchSize: 0
; MemoryBound: 0
; FloatMode: 240
; IeeeMode: 1
; LDSByteSize: 12288 bytes/workgroup (compile time only)
; SGPRBlocks: 3
; VGPRBlocks: 8
; NumSGPRsForWavesPerEU: 32
; NumVGPRsForWavesPerEU: 69
; AccumOffset: 72
; Occupancy: 5
; WaveLimiterHint : 1
; COMPUTE_PGM_RSRC2:SCRATCH_EN: 0
; COMPUTE_PGM_RSRC2:USER_SGPR: 2
; COMPUTE_PGM_RSRC2:TRAP_HANDLER: 0
; COMPUTE_PGM_RSRC2:TGID_X_EN: 1
; COMPUTE_PGM_RSRC2:TGID_Y_EN: 0
; COMPUTE_PGM_RSRC2:TGID_Z_EN: 0
; COMPUTE_PGM_RSRC2:TIDIG_COMP_CNT: 0
; COMPUTE_PGM_RSRC3_GFX90A:ACCUM_OFFSET: 17
; COMPUTE_PGM_RSRC3_GFX90A:TG_SPLIT: 0
	.section	.text._ZN7rocprim17ROCPRIM_304000_NS6detail16transform_kernelINS1_24wrapped_transform_configINS0_14default_configEN3c108BFloat16EEES6_PS6_S8_NS0_8identityIS6_EEEEvT1_mT2_T3_,"axG",@progbits,_ZN7rocprim17ROCPRIM_304000_NS6detail16transform_kernelINS1_24wrapped_transform_configINS0_14default_configEN3c108BFloat16EEES6_PS6_S8_NS0_8identityIS6_EEEEvT1_mT2_T3_,comdat
	.protected	_ZN7rocprim17ROCPRIM_304000_NS6detail16transform_kernelINS1_24wrapped_transform_configINS0_14default_configEN3c108BFloat16EEES6_PS6_S8_NS0_8identityIS6_EEEEvT1_mT2_T3_ ; -- Begin function _ZN7rocprim17ROCPRIM_304000_NS6detail16transform_kernelINS1_24wrapped_transform_configINS0_14default_configEN3c108BFloat16EEES6_PS6_S8_NS0_8identityIS6_EEEEvT1_mT2_T3_
	.globl	_ZN7rocprim17ROCPRIM_304000_NS6detail16transform_kernelINS1_24wrapped_transform_configINS0_14default_configEN3c108BFloat16EEES6_PS6_S8_NS0_8identityIS6_EEEEvT1_mT2_T3_
	.p2align	8
	.type	_ZN7rocprim17ROCPRIM_304000_NS6detail16transform_kernelINS1_24wrapped_transform_configINS0_14default_configEN3c108BFloat16EEES6_PS6_S8_NS0_8identityIS6_EEEEvT1_mT2_T3_,@function
_ZN7rocprim17ROCPRIM_304000_NS6detail16transform_kernelINS1_24wrapped_transform_configINS0_14default_configEN3c108BFloat16EEES6_PS6_S8_NS0_8identityIS6_EEEEvT1_mT2_T3_: ; @_ZN7rocprim17ROCPRIM_304000_NS6detail16transform_kernelINS1_24wrapped_transform_configINS0_14default_configEN3c108BFloat16EEES6_PS6_S8_NS0_8identityIS6_EEEEvT1_mT2_T3_
; %bb.0:
	s_load_dword s3, s[0:1], 0x20
	s_load_dwordx4 s[4:7], s[0:1], 0x0
	s_load_dwordx2 s[12:13], s[0:1], 0x10
	s_lshl_b32 s0, s2, 11
	s_mov_b32 s1, 0
	s_waitcnt lgkmcnt(0)
	s_add_i32 s3, s3, -1
	s_lshl_b64 s[14:15], s[0:1], 1
	s_add_u32 s4, s4, s14
	s_addc_u32 s5, s5, s15
	v_mov_b32_e32 v3, 0
	v_lshlrev_b32_e32 v2, 1, v0
	s_cmp_lg_u32 s2, s3
	v_lshl_add_u64 v[4:5], s[4:5], 0, v[2:3]
	s_cbranch_scc0 .LBB116_2
; %bb.1:
	global_load_ushort v1, v[4:5], off
	global_load_ushort v3, v[4:5], off offset:512
	global_load_ushort v7, v[4:5], off offset:1024
	;; [unrolled: 1-line block ×7, first 2 shown]
	s_add_u32 s4, s12, s14
	s_addc_u32 s5, s13, s15
	s_mov_b64 s[16:17], -1
	s_waitcnt vmcnt(7)
	global_store_short v2, v1, s[4:5]
	s_waitcnt vmcnt(7)
	global_store_short v2, v3, s[4:5] offset:512
	s_waitcnt vmcnt(7)
	global_store_short v2, v7, s[4:5] offset:1024
	;; [unrolled: 2-line block ×6, first 2 shown]
	s_cbranch_execz .LBB116_3
	s_branch .LBB116_28
.LBB116_2:
	s_mov_b64 s[16:17], 0
                                        ; implicit-def: $vgpr6
.LBB116_3:
	s_sub_i32 s18, s6, s0
	v_cmp_gt_u32_e32 vcc, s18, v0
                                        ; implicit-def: $vgpr7
	s_and_saveexec_b64 s[0:1], vcc
	s_cbranch_execz .LBB116_5
; %bb.4:
	global_load_ushort v7, v[4:5], off
.LBB116_5:
	s_or_b64 exec, exec, s[0:1]
	v_or_b32_e32 v1, 0x100, v0
	v_cmp_gt_u32_e64 s[0:1], s18, v1
                                        ; implicit-def: $vgpr8
	s_and_saveexec_b64 s[2:3], s[0:1]
	s_cbranch_execz .LBB116_7
; %bb.6:
	global_load_ushort v8, v[4:5], off offset:512
.LBB116_7:
	s_or_b64 exec, exec, s[2:3]
	v_or_b32_e32 v1, 0x200, v0
	v_cmp_gt_u32_e64 s[2:3], s18, v1
                                        ; implicit-def: $vgpr9
	s_and_saveexec_b64 s[4:5], s[2:3]
	s_cbranch_execz .LBB116_9
; %bb.8:
	global_load_ushort v9, v[4:5], off offset:1024
.LBB116_9:
	s_or_b64 exec, exec, s[4:5]
	v_or_b32_e32 v1, 0x300, v0
	v_cmp_gt_u32_e64 s[4:5], s18, v1
                                        ; implicit-def: $vgpr10
	s_and_saveexec_b64 s[6:7], s[4:5]
	s_cbranch_execz .LBB116_11
; %bb.10:
	global_load_ushort v10, v[4:5], off offset:1536
.LBB116_11:
	s_or_b64 exec, exec, s[6:7]
	v_or_b32_e32 v1, 0x400, v0
	v_cmp_gt_u32_e64 s[6:7], s18, v1
                                        ; implicit-def: $vgpr11
	s_and_saveexec_b64 s[8:9], s[6:7]
	s_cbranch_execz .LBB116_13
; %bb.12:
	global_load_ushort v11, v[4:5], off offset:2048
.LBB116_13:
	s_or_b64 exec, exec, s[8:9]
	v_or_b32_e32 v1, 0x500, v0
	v_cmp_gt_u32_e64 s[8:9], s18, v1
                                        ; implicit-def: $vgpr12
	s_and_saveexec_b64 s[10:11], s[8:9]
	s_cbranch_execz .LBB116_15
; %bb.14:
	global_load_ushort v12, v[4:5], off offset:2560
.LBB116_15:
	s_or_b64 exec, exec, s[10:11]
	v_or_b32_e32 v1, 0x600, v0
	v_cmp_gt_u32_e64 s[10:11], s18, v1
                                        ; implicit-def: $vgpr13
	s_and_saveexec_b64 s[16:17], s[10:11]
	s_cbranch_execz .LBB116_17
; %bb.16:
	global_load_ushort v13, v[4:5], off offset:3072
.LBB116_17:
	s_or_b64 exec, exec, s[16:17]
	v_or_b32_e32 v0, 0x700, v0
	v_cmp_gt_u32_e64 s[16:17], s18, v0
                                        ; implicit-def: $vgpr6
	s_and_saveexec_b64 s[18:19], s[16:17]
	s_cbranch_execz .LBB116_19
; %bb.18:
	global_load_ushort v6, v[4:5], off offset:3584
.LBB116_19:
	s_or_b64 exec, exec, s[18:19]
	s_add_u32 s18, s12, s14
	s_addc_u32 s19, s13, s15
	v_mov_b32_e32 v3, 0
	v_lshl_add_u64 v[0:1], s[18:19], 0, v[2:3]
	s_and_saveexec_b64 s[18:19], vcc
	s_xor_b64 s[18:19], exec, s[18:19]
	s_cbranch_execnz .LBB116_31
; %bb.20:
	s_or_b64 exec, exec, s[18:19]
	s_and_saveexec_b64 s[18:19], s[0:1]
	s_cbranch_execnz .LBB116_32
.LBB116_21:
	s_or_b64 exec, exec, s[18:19]
	s_and_saveexec_b64 s[0:1], s[2:3]
	s_cbranch_execnz .LBB116_33
.LBB116_22:
	s_or_b64 exec, exec, s[0:1]
	s_and_saveexec_b64 s[0:1], s[4:5]
	s_cbranch_execnz .LBB116_34
.LBB116_23:
	s_or_b64 exec, exec, s[0:1]
	s_and_saveexec_b64 s[0:1], s[6:7]
	s_cbranch_execnz .LBB116_35
.LBB116_24:
	s_or_b64 exec, exec, s[0:1]
	s_and_saveexec_b64 s[0:1], s[8:9]
	s_cbranch_execnz .LBB116_36
.LBB116_25:
	s_or_b64 exec, exec, s[0:1]
	s_and_saveexec_b64 s[0:1], s[10:11]
	s_cbranch_execz .LBB116_27
.LBB116_26:
	s_waitcnt vmcnt(0)
	global_store_short v[0:1], v13, off offset:3072
.LBB116_27:
	s_or_b64 exec, exec, s[0:1]
.LBB116_28:
	s_and_saveexec_b64 s[0:1], s[16:17]
	s_cbranch_execnz .LBB116_30
; %bb.29:
	s_endpgm
.LBB116_30:
	s_add_u32 s0, s12, s14
	s_addc_u32 s1, s13, s15
	s_waitcnt vmcnt(0)
	global_store_short v2, v6, s[0:1] offset:3584
	s_endpgm
.LBB116_31:
	s_waitcnt vmcnt(0)
	global_store_short v[0:1], v7, off
	s_or_b64 exec, exec, s[18:19]
	s_and_saveexec_b64 s[18:19], s[0:1]
	s_cbranch_execz .LBB116_21
.LBB116_32:
	s_waitcnt vmcnt(0)
	global_store_short v[0:1], v8, off offset:512
	s_or_b64 exec, exec, s[18:19]
	s_and_saveexec_b64 s[0:1], s[2:3]
	s_cbranch_execz .LBB116_22
.LBB116_33:
	s_waitcnt vmcnt(0)
	global_store_short v[0:1], v9, off offset:1024
	s_or_b64 exec, exec, s[0:1]
	s_and_saveexec_b64 s[0:1], s[4:5]
	s_cbranch_execz .LBB116_23
.LBB116_34:
	s_waitcnt vmcnt(0)
	global_store_short v[0:1], v10, off offset:1536
	s_or_b64 exec, exec, s[0:1]
	s_and_saveexec_b64 s[0:1], s[6:7]
	s_cbranch_execz .LBB116_24
.LBB116_35:
	s_waitcnt vmcnt(0)
	global_store_short v[0:1], v11, off offset:2048
	s_or_b64 exec, exec, s[0:1]
	s_and_saveexec_b64 s[0:1], s[8:9]
	s_cbranch_execz .LBB116_25
.LBB116_36:
	s_waitcnt vmcnt(0)
	global_store_short v[0:1], v12, off offset:2560
	s_or_b64 exec, exec, s[0:1]
	s_and_saveexec_b64 s[0:1], s[10:11]
	s_cbranch_execnz .LBB116_26
	s_branch .LBB116_27
	.section	.rodata,"a",@progbits
	.p2align	6, 0x0
	.amdhsa_kernel _ZN7rocprim17ROCPRIM_304000_NS6detail16transform_kernelINS1_24wrapped_transform_configINS0_14default_configEN3c108BFloat16EEES6_PS6_S8_NS0_8identityIS6_EEEEvT1_mT2_T3_
		.amdhsa_group_segment_fixed_size 0
		.amdhsa_private_segment_fixed_size 0
		.amdhsa_kernarg_size 288
		.amdhsa_user_sgpr_count 2
		.amdhsa_user_sgpr_dispatch_ptr 0
		.amdhsa_user_sgpr_queue_ptr 0
		.amdhsa_user_sgpr_kernarg_segment_ptr 1
		.amdhsa_user_sgpr_dispatch_id 0
		.amdhsa_user_sgpr_kernarg_preload_length 0
		.amdhsa_user_sgpr_kernarg_preload_offset 0
		.amdhsa_user_sgpr_private_segment_size 0
		.amdhsa_uses_dynamic_stack 0
		.amdhsa_enable_private_segment 0
		.amdhsa_system_sgpr_workgroup_id_x 1
		.amdhsa_system_sgpr_workgroup_id_y 0
		.amdhsa_system_sgpr_workgroup_id_z 0
		.amdhsa_system_sgpr_workgroup_info 0
		.amdhsa_system_vgpr_workitem_id 0
		.amdhsa_next_free_vgpr 14
		.amdhsa_next_free_sgpr 20
		.amdhsa_accum_offset 16
		.amdhsa_reserve_vcc 1
		.amdhsa_float_round_mode_32 0
		.amdhsa_float_round_mode_16_64 0
		.amdhsa_float_denorm_mode_32 3
		.amdhsa_float_denorm_mode_16_64 3
		.amdhsa_dx10_clamp 1
		.amdhsa_ieee_mode 1
		.amdhsa_fp16_overflow 0
		.amdhsa_tg_split 0
		.amdhsa_exception_fp_ieee_invalid_op 0
		.amdhsa_exception_fp_denorm_src 0
		.amdhsa_exception_fp_ieee_div_zero 0
		.amdhsa_exception_fp_ieee_overflow 0
		.amdhsa_exception_fp_ieee_underflow 0
		.amdhsa_exception_fp_ieee_inexact 0
		.amdhsa_exception_int_div_zero 0
	.end_amdhsa_kernel
	.section	.text._ZN7rocprim17ROCPRIM_304000_NS6detail16transform_kernelINS1_24wrapped_transform_configINS0_14default_configEN3c108BFloat16EEES6_PS6_S8_NS0_8identityIS6_EEEEvT1_mT2_T3_,"axG",@progbits,_ZN7rocprim17ROCPRIM_304000_NS6detail16transform_kernelINS1_24wrapped_transform_configINS0_14default_configEN3c108BFloat16EEES6_PS6_S8_NS0_8identityIS6_EEEEvT1_mT2_T3_,comdat
.Lfunc_end116:
	.size	_ZN7rocprim17ROCPRIM_304000_NS6detail16transform_kernelINS1_24wrapped_transform_configINS0_14default_configEN3c108BFloat16EEES6_PS6_S8_NS0_8identityIS6_EEEEvT1_mT2_T3_, .Lfunc_end116-_ZN7rocprim17ROCPRIM_304000_NS6detail16transform_kernelINS1_24wrapped_transform_configINS0_14default_configEN3c108BFloat16EEES6_PS6_S8_NS0_8identityIS6_EEEEvT1_mT2_T3_
                                        ; -- End function
	.section	.AMDGPU.csdata,"",@progbits
; Kernel info:
; codeLenInByte = 832
; NumSgprs: 26
; NumVgprs: 14
; NumAgprs: 0
; TotalNumVgprs: 14
; ScratchSize: 0
; MemoryBound: 0
; FloatMode: 240
; IeeeMode: 1
; LDSByteSize: 0 bytes/workgroup (compile time only)
; SGPRBlocks: 3
; VGPRBlocks: 1
; NumSGPRsForWavesPerEU: 26
; NumVGPRsForWavesPerEU: 14
; AccumOffset: 16
; Occupancy: 8
; WaveLimiterHint : 1
; COMPUTE_PGM_RSRC2:SCRATCH_EN: 0
; COMPUTE_PGM_RSRC2:USER_SGPR: 2
; COMPUTE_PGM_RSRC2:TRAP_HANDLER: 0
; COMPUTE_PGM_RSRC2:TGID_X_EN: 1
; COMPUTE_PGM_RSRC2:TGID_Y_EN: 0
; COMPUTE_PGM_RSRC2:TGID_Z_EN: 0
; COMPUTE_PGM_RSRC2:TIDIG_COMP_CNT: 0
; COMPUTE_PGM_RSRC3_GFX90A:ACCUM_OFFSET: 3
; COMPUTE_PGM_RSRC3_GFX90A:TG_SPLIT: 0
	.section	.text._ZN7rocprim17ROCPRIM_304000_NS6detail18single_scan_kernelILb0ENS1_19wrapped_scan_configINS0_14default_configEN3c108BFloat16EEEPKS6_PS6_St4plusIS6_ES6_S6_EEvT1_mT4_T2_T3_,"axG",@progbits,_ZN7rocprim17ROCPRIM_304000_NS6detail18single_scan_kernelILb0ENS1_19wrapped_scan_configINS0_14default_configEN3c108BFloat16EEEPKS6_PS6_St4plusIS6_ES6_S6_EEvT1_mT4_T2_T3_,comdat
	.protected	_ZN7rocprim17ROCPRIM_304000_NS6detail18single_scan_kernelILb0ENS1_19wrapped_scan_configINS0_14default_configEN3c108BFloat16EEEPKS6_PS6_St4plusIS6_ES6_S6_EEvT1_mT4_T2_T3_ ; -- Begin function _ZN7rocprim17ROCPRIM_304000_NS6detail18single_scan_kernelILb0ENS1_19wrapped_scan_configINS0_14default_configEN3c108BFloat16EEEPKS6_PS6_St4plusIS6_ES6_S6_EEvT1_mT4_T2_T3_
	.globl	_ZN7rocprim17ROCPRIM_304000_NS6detail18single_scan_kernelILb0ENS1_19wrapped_scan_configINS0_14default_configEN3c108BFloat16EEEPKS6_PS6_St4plusIS6_ES6_S6_EEvT1_mT4_T2_T3_
	.p2align	8
	.type	_ZN7rocprim17ROCPRIM_304000_NS6detail18single_scan_kernelILb0ENS1_19wrapped_scan_configINS0_14default_configEN3c108BFloat16EEEPKS6_PS6_St4plusIS6_ES6_S6_EEvT1_mT4_T2_T3_,@function
_ZN7rocprim17ROCPRIM_304000_NS6detail18single_scan_kernelILb0ENS1_19wrapped_scan_configINS0_14default_configEN3c108BFloat16EEEPKS6_PS6_St4plusIS6_ES6_S6_EEvT1_mT4_T2_T3_: ; @_ZN7rocprim17ROCPRIM_304000_NS6detail18single_scan_kernelILb0ENS1_19wrapped_scan_configINS0_14default_configEN3c108BFloat16EEEPKS6_PS6_St4plusIS6_ES6_S6_EEvT1_mT4_T2_T3_
; %bb.0:
	s_load_dwordx4 s[52:55], s[0:1], 0x0
	v_mov_b32_e32 v7, 0
	v_lshlrev_b32_e32 v6, 1, v0
	s_waitcnt lgkmcnt(0)
	global_load_ushort v1, v7, s[52:53]
	v_lshl_add_u64 v[2:3], s[52:53], 0, v[6:7]
	v_cmp_gt_u32_e64 s[50:51], s54, v0
	s_waitcnt vmcnt(0)
	v_mov_b32_e32 v4, v1
	s_and_saveexec_b64 s[2:3], s[50:51]
	s_cbranch_execz .LBB117_2
; %bb.1:
	global_load_ushort v4, v[2:3], off
.LBB117_2:
	s_or_b64 exec, exec, s[2:3]
	v_or_b32_e32 v5, 0x100, v0
	v_cmp_gt_u32_e64 s[2:3], s54, v5
	v_mov_b32_e32 v5, v1
	s_and_saveexec_b64 s[4:5], s[2:3]
	s_cbranch_execz .LBB117_4
; %bb.3:
	global_load_ushort v5, v[2:3], off offset:512
.LBB117_4:
	s_or_b64 exec, exec, s[4:5]
	v_or_b32_e32 v7, 0x200, v0
	v_cmp_gt_u32_e64 s[4:5], s54, v7
	v_mov_b32_e32 v7, v1
	s_and_saveexec_b64 s[6:7], s[4:5]
	s_cbranch_execz .LBB117_6
; %bb.5:
	global_load_ushort v7, v[2:3], off offset:1024
.LBB117_6:
	;; [unrolled: 9-line block ×7, first 2 shown]
	s_or_b64 exec, exec, s[16:17]
	v_or_b32_e32 v13, 0x800, v0
	v_cmp_gt_u32_e64 s[16:17], s54, v13
	v_mov_b32_e32 v13, v1
	s_and_saveexec_b64 s[18:19], s[16:17]
	s_cbranch_execz .LBB117_18
; %bb.17:
	v_add_co_u32_e32 v14, vcc, 0x1000, v2
	s_nop 1
	v_addc_co_u32_e32 v15, vcc, 0, v3, vcc
	global_load_ushort v13, v[14:15], off
.LBB117_18:
	s_or_b64 exec, exec, s[18:19]
	v_or_b32_e32 v14, 0x900, v0
	v_cmp_gt_u32_e64 s[18:19], s54, v14
	v_mov_b32_e32 v14, v1
	s_and_saveexec_b64 s[20:21], s[18:19]
	s_cbranch_execz .LBB117_20
; %bb.19:
	v_add_co_u32_e32 v14, vcc, 0x1000, v2
	s_nop 1
	v_addc_co_u32_e32 v15, vcc, 0, v3, vcc
	global_load_ushort v14, v[14:15], off offset:512
.LBB117_20:
	s_or_b64 exec, exec, s[20:21]
	v_or_b32_e32 v15, 0xa00, v0
	v_cmp_gt_u32_e64 s[20:21], s54, v15
	v_mov_b32_e32 v15, v1
	s_and_saveexec_b64 s[22:23], s[20:21]
	s_cbranch_execz .LBB117_22
; %bb.21:
	v_add_co_u32_e32 v16, vcc, 0x1000, v2
	s_nop 1
	v_addc_co_u32_e32 v17, vcc, 0, v3, vcc
	global_load_ushort v15, v[16:17], off offset:1024
.LBB117_22:
	;; [unrolled: 12-line block ×7, first 2 shown]
	s_or_b64 exec, exec, s[34:35]
	v_or_b32_e32 v21, 0x1000, v0
	v_cmp_gt_u32_e64 s[34:35], s54, v21
	v_mov_b32_e32 v21, v1
	s_and_saveexec_b64 s[36:37], s[34:35]
	s_cbranch_execz .LBB117_34
; %bb.33:
	v_add_co_u32_e32 v22, vcc, 0x2000, v2
	s_nop 1
	v_addc_co_u32_e32 v23, vcc, 0, v3, vcc
	global_load_ushort v21, v[22:23], off
.LBB117_34:
	s_or_b64 exec, exec, s[36:37]
	v_or_b32_e32 v22, 0x1100, v0
	v_cmp_gt_u32_e64 s[36:37], s54, v22
	v_mov_b32_e32 v22, v1
	s_and_saveexec_b64 s[38:39], s[36:37]
	s_cbranch_execz .LBB117_36
; %bb.35:
	v_add_co_u32_e32 v22, vcc, 0x2000, v2
	s_nop 1
	v_addc_co_u32_e32 v23, vcc, 0, v3, vcc
	global_load_ushort v22, v[22:23], off offset:512
.LBB117_36:
	s_or_b64 exec, exec, s[38:39]
	v_or_b32_e32 v23, 0x1200, v0
	v_cmp_gt_u32_e64 s[38:39], s54, v23
	v_mov_b32_e32 v23, v1
	s_and_saveexec_b64 s[40:41], s[38:39]
	s_cbranch_execz .LBB117_38
; %bb.37:
	v_add_co_u32_e32 v24, vcc, 0x2000, v2
	s_nop 1
	v_addc_co_u32_e32 v25, vcc, 0, v3, vcc
	global_load_ushort v23, v[24:25], off offset:1024
.LBB117_38:
	;; [unrolled: 12-line block ×6, first 2 shown]
	s_or_b64 exec, exec, s[48:49]
	v_or_b32_e32 v28, 0x1700, v0
	v_cmp_gt_u32_e64 s[48:49], s54, v28
	s_and_saveexec_b64 s[52:53], s[48:49]
	s_cbranch_execz .LBB117_48
; %bb.47:
	v_add_co_u32_e32 v2, vcc, 0x2000, v2
	s_nop 1
	v_addc_co_u32_e32 v3, vcc, 0, v3, vcc
	global_load_ushort v1, v[2:3], off offset:3584
.LBB117_48:
	s_or_b64 exec, exec, s[52:53]
	s_waitcnt vmcnt(0)
	ds_write_b16 v6, v4
	ds_write_b16 v6, v5 offset:512
	ds_write_b16 v6, v7 offset:1024
	;; [unrolled: 1-line block ×23, first 2 shown]
	v_mad_u32_u24 v1, v0, 46, v6
	s_waitcnt lgkmcnt(0)
	s_barrier
	ds_read_b128 v[2:5], v1
	ds_read_b128 v[12:15], v1 offset:16
	ds_read_b128 v[20:23], v1 offset:32
	s_movk_i32 s33, 0x7fff
	v_mov_b32_e32 v29, 0x7fc00000
	s_waitcnt lgkmcnt(2)
	v_and_b32_e32 v25, 0xffff0000, v2
	v_lshlrev_b32_e32 v28, 16, v2
	v_add_f32_e32 v26, v25, v28
	v_bfe_u32 v1, v26, 16, 1
	v_add3_u32 v27, v26, v1, s33
	v_and_b32_e32 v1, 0xffff0000, v27
	v_cmp_o_f32_e32 vcc, v26, v26
	v_lshlrev_b32_e32 v24, 16, v3
	v_mov_b32_e32 v33, 0x7fc0
	v_cndmask_b32_e32 v1, v29, v1, vcc
	v_add_f32_e32 v1, v1, v24
	v_bfe_u32 v7, v1, 16, 1
	v_add3_u32 v7, v1, v7, s33
	v_and_b32_e32 v7, 0xffff0000, v7
	v_cmp_o_f32_e32 vcc, v1, v1
	v_and_b32_e32 v1, 0xffff0000, v3
	s_waitcnt lgkmcnt(0)
	v_cndmask_b32_e32 v7, v29, v7, vcc
	v_add_f32_e32 v3, v7, v1
	v_bfe_u32 v7, v3, 16, 1
	v_add3_u32 v7, v3, v7, s33
	v_and_b32_e32 v7, 0xffff0000, v7
	v_cmp_o_f32_e32 vcc, v3, v3
	v_lshlrev_b32_e32 v3, 16, v4
	v_and_b32_e32 v4, 0xffff0000, v4
	v_cndmask_b32_e32 v7, v29, v7, vcc
	v_add_f32_e32 v7, v7, v3
	v_bfe_u32 v8, v7, 16, 1
	v_add3_u32 v8, v7, v8, s33
	v_and_b32_e32 v8, 0xffff0000, v8
	v_cmp_o_f32_e32 vcc, v7, v7
	s_barrier
	s_nop 0
	v_cndmask_b32_e32 v7, v29, v8, vcc
	v_add_f32_e32 v7, v7, v4
	v_bfe_u32 v8, v7, 16, 1
	v_add3_u32 v8, v7, v8, s33
	v_and_b32_e32 v8, 0xffff0000, v8
	v_cmp_o_f32_e32 vcc, v7, v7
	v_lshlrev_b32_e32 v7, 16, v5
	v_and_b32_e32 v5, 0xffff0000, v5
	v_cndmask_b32_e32 v8, v29, v8, vcc
	v_add_f32_e32 v8, v8, v7
	v_bfe_u32 v9, v8, 16, 1
	v_add3_u32 v9, v8, v9, s33
	v_and_b32_e32 v9, 0xffff0000, v9
	v_cmp_o_f32_e32 vcc, v8, v8
	s_nop 1
	v_cndmask_b32_e32 v8, v29, v9, vcc
	v_add_f32_e32 v8, v8, v5
	v_bfe_u32 v9, v8, 16, 1
	v_add3_u32 v9, v8, v9, s33
	v_and_b32_e32 v9, 0xffff0000, v9
	v_cmp_o_f32_e32 vcc, v8, v8
	v_lshlrev_b32_e32 v8, 16, v12
	s_nop 0
	v_cndmask_b32_e32 v9, v29, v9, vcc
	v_add_f32_e32 v9, v9, v8
	v_bfe_u32 v10, v9, 16, 1
	v_add3_u32 v10, v9, v10, s33
	v_and_b32_e32 v10, 0xffff0000, v10
	v_cmp_o_f32_e32 vcc, v9, v9
	v_and_b32_e32 v9, 0xffff0000, v12
	s_nop 0
	v_cndmask_b32_e32 v10, v29, v10, vcc
	v_add_f32_e32 v10, v10, v9
	v_bfe_u32 v11, v10, 16, 1
	v_add3_u32 v11, v10, v11, s33
	v_and_b32_e32 v11, 0xffff0000, v11
	v_cmp_o_f32_e32 vcc, v10, v10
	v_lshlrev_b32_e32 v10, 16, v13
	s_nop 0
	v_cndmask_b32_e32 v11, v29, v11, vcc
	v_add_f32_e32 v11, v11, v10
	v_bfe_u32 v12, v11, 16, 1
	v_add3_u32 v12, v11, v12, s33
	v_and_b32_e32 v12, 0xffff0000, v12
	v_cmp_o_f32_e32 vcc, v11, v11
	v_and_b32_e32 v11, 0xffff0000, v13
	;; [unrolled: 16-line block ×3, first 2 shown]
	s_nop 0
	v_cndmask_b32_e32 v16, v29, v16, vcc
	v_add_f32_e32 v14, v16, v13
	v_bfe_u32 v16, v14, 16, 1
	v_add3_u32 v16, v14, v16, s33
	v_and_b32_e32 v16, 0xffff0000, v16
	v_cmp_o_f32_e32 vcc, v14, v14
	v_lshlrev_b32_e32 v14, 16, v15
	v_and_b32_e32 v15, 0xffff0000, v15
	v_cndmask_b32_e32 v16, v29, v16, vcc
	v_add_f32_e32 v16, v16, v14
	v_bfe_u32 v17, v16, 16, 1
	v_add3_u32 v17, v16, v17, s33
	v_and_b32_e32 v17, 0xffff0000, v17
	v_cmp_o_f32_e32 vcc, v16, v16
	s_nop 1
	v_cndmask_b32_e32 v16, v29, v17, vcc
	v_add_f32_e32 v16, v16, v15
	v_bfe_u32 v17, v16, 16, 1
	v_add3_u32 v17, v16, v17, s33
	v_and_b32_e32 v17, 0xffff0000, v17
	v_cmp_o_f32_e32 vcc, v16, v16
	v_lshlrev_b32_e32 v16, 16, v20
	s_nop 0
	v_cndmask_b32_e32 v17, v29, v17, vcc
	v_add_f32_e32 v17, v17, v16
	v_bfe_u32 v18, v17, 16, 1
	v_add3_u32 v18, v17, v18, s33
	v_and_b32_e32 v18, 0xffff0000, v18
	v_cmp_o_f32_e32 vcc, v17, v17
	v_and_b32_e32 v17, 0xffff0000, v20
	s_nop 0
	v_cndmask_b32_e32 v18, v29, v18, vcc
	v_add_f32_e32 v18, v18, v17
	v_bfe_u32 v19, v18, 16, 1
	v_add3_u32 v19, v18, v19, s33
	v_and_b32_e32 v19, 0xffff0000, v19
	v_cmp_o_f32_e32 vcc, v18, v18
	v_lshlrev_b32_e32 v18, 16, v21
	s_nop 0
	v_cndmask_b32_e32 v19, v29, v19, vcc
	v_add_f32_e32 v19, v19, v18
	v_bfe_u32 v20, v19, 16, 1
	v_add3_u32 v20, v19, v20, s33
	v_and_b32_e32 v20, 0xffff0000, v20
	v_cmp_o_f32_e32 vcc, v19, v19
	v_and_b32_e32 v19, 0xffff0000, v21
	;; [unrolled: 16-line block ×3, first 2 shown]
	s_nop 0
	v_cndmask_b32_e32 v30, v29, v30, vcc
	v_add_f32_e32 v22, v30, v21
	v_bfe_u32 v30, v22, 16, 1
	v_add3_u32 v30, v22, v30, s33
	v_and_b32_e32 v30, 0xffff0000, v30
	v_cmp_o_f32_e32 vcc, v22, v22
	v_lshlrev_b32_e32 v22, 16, v23
	v_and_b32_e32 v23, 0xffff0000, v23
	v_cndmask_b32_e32 v30, v29, v30, vcc
	v_add_f32_e32 v30, v30, v22
	v_bfe_u32 v31, v30, 16, 1
	v_add3_u32 v31, v30, v31, s33
	v_and_b32_e32 v31, 0xffff0000, v31
	v_cmp_o_f32_e32 vcc, v30, v30
	s_nop 1
	v_cndmask_b32_e32 v29, v29, v31, vcc
	v_add_f32_e32 v29, v29, v23
	v_bfe_u32 v30, v29, 16, 1
	v_add3_u32 v30, v29, v30, s33
	v_lshrrev_b32_e32 v30, 16, v30
	v_cmp_o_f32_e32 vcc, v29, v29
	v_mbcnt_lo_u32_b32 v29, -1, 0
	v_mbcnt_hi_u32_b32 v29, -1, v29
	v_cndmask_b32_e32 v31, v33, v30, vcc
	v_and_b32_e32 v32, 15, v29
	v_and_b32_e32 v30, 0xffff, v31
	v_cmp_ne_u32_e32 vcc, 0, v32
	s_nop 0
	v_mov_b32_dpp v34, v30 row_shr:1 row_mask:0xf bank_mask:0xf
	s_and_saveexec_b64 s[52:53], vcc
; %bb.49:
	v_lshlrev_b32_e32 v31, 16, v34
	v_lshlrev_b32_e32 v30, 16, v30
	v_add_f32_e32 v30, v30, v31
	v_bfe_u32 v31, v30, 16, 1
	v_add3_u32 v31, v30, v31, s33
	v_lshrrev_b32_e32 v31, 16, v31
	v_cmp_o_f32_e32 vcc, v30, v30
	s_nop 1
	v_cndmask_b32_e32 v31, v33, v31, vcc
	v_and_b32_e32 v30, 0xffff, v31
; %bb.50:
	s_or_b64 exec, exec, s[52:53]
	s_nop 0
	v_mov_b32_dpp v33, v30 row_shr:2 row_mask:0xf bank_mask:0xf
	v_cmp_lt_u32_e32 vcc, 1, v32
	s_and_saveexec_b64 s[52:53], vcc
; %bb.51:
	v_lshlrev_b32_e32 v30, 16, v30
	v_lshlrev_b32_e32 v31, 16, v33
	v_add_f32_e32 v30, v31, v30
	v_bfe_u32 v31, v30, 16, 1
	v_add3_u32 v31, v30, v31, s33
	v_lshrrev_b32_e32 v31, 16, v31
	v_mov_b32_e32 v33, 0x7fc0
	v_cmp_o_f32_e32 vcc, v30, v30
	s_nop 1
	v_cndmask_b32_e32 v31, v33, v31, vcc
	v_and_b32_e32 v30, 0xffff, v31
; %bb.52:
	s_or_b64 exec, exec, s[52:53]
	s_nop 0
	v_mov_b32_dpp v33, v30 row_shr:4 row_mask:0xf bank_mask:0xf
	v_cmp_lt_u32_e32 vcc, 3, v32
	s_and_saveexec_b64 s[52:53], vcc
; %bb.53:
	v_lshlrev_b32_e32 v30, 16, v30
	v_lshlrev_b32_e32 v31, 16, v33
	v_add_f32_e32 v30, v31, v30
	v_bfe_u32 v31, v30, 16, 1
	v_add3_u32 v31, v30, v31, s33
	v_lshrrev_b32_e32 v31, 16, v31
	v_mov_b32_e32 v33, 0x7fc0
	;; [unrolled: 18-line block ×3, first 2 shown]
	v_cmp_o_f32_e32 vcc, v30, v30
	s_nop 1
	v_cndmask_b32_e32 v31, v32, v31, vcc
	v_and_b32_e32 v30, 0xffff, v31
; %bb.56:
	s_or_b64 exec, exec, s[52:53]
	v_and_b32_e32 v33, 16, v29
	v_mov_b32_dpp v32, v30 row_bcast:15 row_mask:0xf bank_mask:0xf
	v_cmp_ne_u32_e32 vcc, 0, v33
	s_and_saveexec_b64 s[52:53], vcc
; %bb.57:
	v_lshlrev_b32_e32 v30, 16, v30
	v_lshlrev_b32_e32 v31, 16, v32
	v_add_f32_e32 v30, v31, v30
	v_bfe_u32 v31, v30, 16, 1
	v_add3_u32 v31, v30, v31, s33
	v_lshrrev_b32_e32 v31, 16, v31
	v_mov_b32_e32 v32, 0x7fc0
	v_cmp_o_f32_e32 vcc, v30, v30
	s_nop 1
	v_cndmask_b32_e32 v31, v32, v31, vcc
	v_and_b32_e32 v30, 0xffff, v31
; %bb.58:
	s_or_b64 exec, exec, s[52:53]
	s_nop 0
	v_mov_b32_dpp v32, v30 row_bcast:31 row_mask:0xf bank_mask:0xf
	v_cmp_lt_u32_e32 vcc, 31, v29
	s_and_saveexec_b64 s[52:53], vcc
; %bb.59:
	v_lshlrev_b32_e32 v30, 16, v30
	v_lshlrev_b32_e32 v31, 16, v32
	v_add_f32_e32 v30, v31, v30
	v_bfe_u32 v31, v30, 16, 1
	v_add3_u32 v31, v30, v31, s33
	v_lshrrev_b32_e32 v31, 16, v31
	v_mov_b32_e32 v32, 0x7fc0
	v_cmp_o_f32_e32 vcc, v30, v30
	s_nop 1
	v_cndmask_b32_e32 v31, v32, v31, vcc
; %bb.60:
	s_or_b64 exec, exec, s[52:53]
	v_or_b32_e32 v30, 63, v0
	v_lshrrev_b32_e32 v32, 6, v0
	v_cmp_eq_u32_e32 vcc, v30, v0
	s_and_saveexec_b64 s[52:53], vcc
	s_cbranch_execz .LBB117_62
; %bb.61:
	v_lshlrev_b32_e32 v30, 1, v32
	ds_write_b16 v30, v31
.LBB117_62:
	s_or_b64 exec, exec, s[52:53]
	v_cmp_gt_u32_e32 vcc, 4, v0
	s_waitcnt lgkmcnt(0)
	s_barrier
	s_and_saveexec_b64 s[52:53], vcc
	s_cbranch_execz .LBB117_68
; %bb.63:
	ds_read_u16 v30, v6
	v_and_b32_e32 v33, 3, v29
	v_cmp_ne_u32_e32 vcc, 0, v33
	s_waitcnt lgkmcnt(0)
	v_and_b32_e32 v34, 0xffff, v30
	s_nop 1
	v_mov_b32_dpp v35, v34 row_shr:1 row_mask:0xf bank_mask:0xf
	s_and_saveexec_b64 s[54:55], vcc
; %bb.64:
	v_lshlrev_b32_e32 v30, 16, v34
	v_lshlrev_b32_e32 v34, 16, v35
	v_add_f32_e32 v30, v34, v30
	v_bfe_u32 v34, v30, 16, 1
	v_add3_u32 v34, v30, v34, s33
	v_lshrrev_b32_e32 v34, 16, v34
	v_mov_b32_e32 v35, 0x7fc0
	v_cmp_o_f32_e32 vcc, v30, v30
	s_nop 1
	v_cndmask_b32_e32 v30, v35, v34, vcc
	v_and_b32_e32 v34, 0xffff, v30
; %bb.65:
	s_or_b64 exec, exec, s[54:55]
	s_nop 0
	v_mov_b32_dpp v35, v34 row_shr:2 row_mask:0xf bank_mask:0xf
	v_cmp_lt_u32_e32 vcc, 1, v33
	s_and_saveexec_b64 s[54:55], vcc
; %bb.66:
	v_lshlrev_b32_e32 v30, 16, v34
	v_lshlrev_b32_e32 v33, 16, v35
	v_add_f32_e32 v30, v33, v30
	v_bfe_u32 v33, v30, 16, 1
	v_add3_u32 v33, v30, v33, s33
	v_lshrrev_b32_e32 v33, 16, v33
	v_mov_b32_e32 v34, 0x7fc0
	v_cmp_o_f32_e32 vcc, v30, v30
	s_nop 1
	v_cndmask_b32_e32 v30, v34, v33, vcc
; %bb.67:
	s_or_b64 exec, exec, s[54:55]
	ds_write_b16 v6, v30
.LBB117_68:
	s_or_b64 exec, exec, s[52:53]
	v_mul_u32_u24_e32 v30, 46, v0
	v_cmp_lt_u32_e32 vcc, 63, v0
	s_waitcnt lgkmcnt(0)
	s_barrier
	s_waitcnt lgkmcnt(0)
                                        ; implicit-def: $vgpr33
	s_and_saveexec_b64 s[52:53], vcc
	s_cbranch_execz .LBB117_70
; %bb.69:
	v_lshl_add_u32 v32, v32, 1, -2
	ds_read_u16 v33, v32
	v_lshlrev_b32_e32 v31, 16, v31
	v_mov_b32_e32 v32, 0x7fc0
	s_waitcnt lgkmcnt(0)
	v_lshlrev_b32_e32 v34, 16, v33
	v_add_f32_e32 v31, v34, v31
	v_bfe_u32 v34, v31, 16, 1
	v_add3_u32 v34, v31, v34, s33
	v_lshrrev_b32_e32 v34, 16, v34
	v_cmp_o_f32_e32 vcc, v31, v31
	s_nop 1
	v_cndmask_b32_e32 v31, v32, v34, vcc
.LBB117_70:
	s_or_b64 exec, exec, s[52:53]
	v_add_u32_e32 v32, -1, v29
	v_and_b32_e32 v34, 64, v29
	v_cmp_lt_i32_e32 vcc, v32, v34
	v_and_b32_e32 v31, 0xffff, v31
	s_nop 0
	v_cndmask_b32_e32 v32, v32, v29, vcc
	v_lshlrev_b32_e32 v32, 2, v32
	ds_bpermute_b32 v31, v32, v31
	v_cmp_ne_u32_e32 vcc, 0, v0
	s_and_saveexec_b64 s[52:53], vcc
	s_cbranch_execz .LBB117_72
; %bb.71:
	v_cmp_eq_u32_e32 vcc, 0, v29
	v_mov_b32_e32 v26, 0x7fc0
	s_waitcnt lgkmcnt(0)
	v_cndmask_b32_e32 v0, v31, v33, vcc
	v_lshlrev_b32_e32 v0, 16, v0
	v_add_f32_e32 v0, v28, v0
	v_bfe_u32 v2, v0, 16, 1
	v_add3_u32 v2, v0, v2, s33
	v_lshrrev_b32_e32 v2, 16, v2
	v_cmp_o_f32_e32 vcc, v0, v0
	s_nop 1
	v_cndmask_b32_e32 v2, v26, v2, vcc
	v_lshlrev_b32_e32 v0, 16, v2
	v_add_f32_e32 v26, v25, v0
	v_bfe_u32 v0, v26, 16, 1
	v_add3_u32 v27, v26, v0, s33
.LBB117_72:
	s_or_b64 exec, exec, s[52:53]
	v_lshrrev_b32_e32 v0, 16, v27
	v_mov_b32_e32 v25, 0x7fc0
	v_cmp_o_f32_e32 vcc, v26, v26
	s_waitcnt lgkmcnt(0)
	s_barrier
	v_cndmask_b32_e32 v0, v25, v0, vcc
	v_lshlrev_b32_e32 v26, 16, v0
	v_add_f32_e32 v24, v24, v26
	v_bfe_u32 v26, v24, 16, 1
	v_add3_u32 v26, v24, v26, s33
	v_lshrrev_b32_e32 v26, 16, v26
	v_cmp_o_f32_e32 vcc, v24, v24
	s_load_dwordx2 s[0:1], s[0:1], 0x18
	s_nop 0
	v_cndmask_b32_e32 v24, v25, v26, vcc
	v_lshlrev_b32_e32 v26, 16, v24
	v_add_f32_e32 v1, v1, v26
	v_bfe_u32 v26, v1, 16, 1
	v_add3_u32 v26, v1, v26, s33
	v_lshrrev_b32_e32 v26, 16, v26
	v_cmp_o_f32_e32 vcc, v1, v1
	s_nop 1
	v_cndmask_b32_e32 v1, v25, v26, vcc
	v_lshlrev_b32_e32 v26, 16, v1
	v_add_f32_e32 v3, v3, v26
	v_bfe_u32 v26, v3, 16, 1
	v_add3_u32 v26, v3, v26, s33
	v_lshrrev_b32_e32 v26, 16, v26
	v_cmp_o_f32_e32 vcc, v3, v3
	;; [unrolled: 8-line block ×21, first 2 shown]
	s_mov_b32 s33, 0x5040100
	v_perm_b32 v5, v5, v7, s33
	v_cndmask_b32_e32 v23, v25, v26, vcc
	v_add_u32_e32 v25, v6, v30
	v_perm_b32 v4, v4, v3, s33
	v_perm_b32 v3, v1, v24, s33
	;; [unrolled: 1-line block ×3, first 2 shown]
	ds_write_b128 v25, v[2:5]
	v_perm_b32 v3, v15, v14, s33
	v_perm_b32 v2, v13, v12, s33
	;; [unrolled: 1-line block ×4, first 2 shown]
	ds_write_b128 v25, v[0:3] offset:16
	v_perm_b32 v3, v23, v22, s33
	v_perm_b32 v2, v21, v20, s33
	;; [unrolled: 1-line block ×4, first 2 shown]
	ds_write_b128 v25, v[0:3] offset:32
	s_waitcnt lgkmcnt(0)
	s_barrier
	ds_read_u16 v26, v6 offset:512
	ds_read_u16 v25, v6 offset:1024
	;; [unrolled: 1-line block ×23, first 2 shown]
	v_mov_b32_e32 v7, 0
	v_lshl_add_u64 v[0:1], s[0:1], 0, v[6:7]
	s_and_saveexec_b64 s[0:1], s[50:51]
	s_cbranch_execnz .LBB117_97
; %bb.73:
	s_or_b64 exec, exec, s[0:1]
	s_and_saveexec_b64 s[0:1], s[2:3]
	s_cbranch_execnz .LBB117_98
.LBB117_74:
	s_or_b64 exec, exec, s[0:1]
	s_and_saveexec_b64 s[0:1], s[4:5]
	s_cbranch_execnz .LBB117_99
.LBB117_75:
	s_or_b64 exec, exec, s[0:1]
	s_and_saveexec_b64 s[0:1], s[6:7]
	s_cbranch_execnz .LBB117_100
.LBB117_76:
	s_or_b64 exec, exec, s[0:1]
	s_and_saveexec_b64 s[0:1], s[8:9]
	s_cbranch_execnz .LBB117_101
.LBB117_77:
	s_or_b64 exec, exec, s[0:1]
	s_and_saveexec_b64 s[0:1], s[10:11]
	s_cbranch_execnz .LBB117_102
.LBB117_78:
	s_or_b64 exec, exec, s[0:1]
	s_and_saveexec_b64 s[0:1], s[12:13]
	s_cbranch_execnz .LBB117_103
.LBB117_79:
	s_or_b64 exec, exec, s[0:1]
	s_and_saveexec_b64 s[0:1], s[14:15]
	s_cbranch_execnz .LBB117_104
.LBB117_80:
	s_or_b64 exec, exec, s[0:1]
	s_and_saveexec_b64 s[0:1], s[16:17]
	s_cbranch_execnz .LBB117_105
.LBB117_81:
	s_or_b64 exec, exec, s[0:1]
	s_and_saveexec_b64 s[0:1], s[18:19]
	s_cbranch_execnz .LBB117_106
.LBB117_82:
	s_or_b64 exec, exec, s[0:1]
	s_and_saveexec_b64 s[0:1], s[20:21]
	s_cbranch_execnz .LBB117_107
.LBB117_83:
	s_or_b64 exec, exec, s[0:1]
	s_and_saveexec_b64 s[0:1], s[22:23]
	s_cbranch_execnz .LBB117_108
.LBB117_84:
	s_or_b64 exec, exec, s[0:1]
	s_and_saveexec_b64 s[0:1], s[24:25]
	s_cbranch_execnz .LBB117_109
.LBB117_85:
	s_or_b64 exec, exec, s[0:1]
	s_and_saveexec_b64 s[0:1], s[26:27]
	s_cbranch_execnz .LBB117_110
.LBB117_86:
	s_or_b64 exec, exec, s[0:1]
	s_and_saveexec_b64 s[0:1], s[28:29]
	s_cbranch_execnz .LBB117_111
.LBB117_87:
	s_or_b64 exec, exec, s[0:1]
	s_and_saveexec_b64 s[0:1], s[30:31]
	s_cbranch_execnz .LBB117_112
.LBB117_88:
	s_or_b64 exec, exec, s[0:1]
	s_and_saveexec_b64 s[0:1], s[34:35]
	s_cbranch_execnz .LBB117_113
.LBB117_89:
	s_or_b64 exec, exec, s[0:1]
	s_and_saveexec_b64 s[0:1], s[36:37]
	s_cbranch_execnz .LBB117_114
.LBB117_90:
	s_or_b64 exec, exec, s[0:1]
	s_and_saveexec_b64 s[0:1], s[38:39]
	s_cbranch_execnz .LBB117_115
.LBB117_91:
	s_or_b64 exec, exec, s[0:1]
	s_and_saveexec_b64 s[0:1], s[40:41]
	s_cbranch_execnz .LBB117_116
.LBB117_92:
	s_or_b64 exec, exec, s[0:1]
	s_and_saveexec_b64 s[0:1], s[42:43]
	s_cbranch_execnz .LBB117_117
.LBB117_93:
	s_or_b64 exec, exec, s[0:1]
	s_and_saveexec_b64 s[0:1], s[44:45]
	s_cbranch_execnz .LBB117_118
.LBB117_94:
	s_or_b64 exec, exec, s[0:1]
	s_and_saveexec_b64 s[0:1], s[46:47]
	s_cbranch_execnz .LBB117_119
.LBB117_95:
	s_or_b64 exec, exec, s[0:1]
	s_and_saveexec_b64 s[0:1], s[48:49]
	s_cbranch_execnz .LBB117_120
.LBB117_96:
	s_endpgm
.LBB117_97:
	ds_read_u16 v6, v6
	s_waitcnt lgkmcnt(0)
	global_store_short v[0:1], v6, off
	s_or_b64 exec, exec, s[0:1]
	s_and_saveexec_b64 s[0:1], s[2:3]
	s_cbranch_execz .LBB117_74
.LBB117_98:
	s_waitcnt lgkmcnt(14)
	global_store_short v[0:1], v26, off offset:512
	s_or_b64 exec, exec, s[0:1]
	s_and_saveexec_b64 s[0:1], s[4:5]
	s_cbranch_execz .LBB117_75
.LBB117_99:
	s_waitcnt lgkmcnt(14)
	global_store_short v[0:1], v25, off offset:1024
	s_or_b64 exec, exec, s[0:1]
	s_and_saveexec_b64 s[0:1], s[6:7]
	s_cbranch_execz .LBB117_76
.LBB117_100:
	s_waitcnt lgkmcnt(14)
	global_store_short v[0:1], v24, off offset:1536
	s_or_b64 exec, exec, s[0:1]
	s_and_saveexec_b64 s[0:1], s[8:9]
	s_cbranch_execz .LBB117_77
.LBB117_101:
	s_waitcnt lgkmcnt(14)
	global_store_short v[0:1], v23, off offset:2048
	s_or_b64 exec, exec, s[0:1]
	s_and_saveexec_b64 s[0:1], s[10:11]
	s_cbranch_execz .LBB117_78
.LBB117_102:
	s_waitcnt lgkmcnt(14)
	global_store_short v[0:1], v22, off offset:2560
	s_or_b64 exec, exec, s[0:1]
	s_and_saveexec_b64 s[0:1], s[12:13]
	s_cbranch_execz .LBB117_79
.LBB117_103:
	s_waitcnt lgkmcnt(14)
	global_store_short v[0:1], v21, off offset:3072
	s_or_b64 exec, exec, s[0:1]
	s_and_saveexec_b64 s[0:1], s[14:15]
	s_cbranch_execz .LBB117_80
.LBB117_104:
	s_waitcnt lgkmcnt(14)
	global_store_short v[0:1], v20, off offset:3584
	s_or_b64 exec, exec, s[0:1]
	s_and_saveexec_b64 s[0:1], s[16:17]
	s_cbranch_execz .LBB117_81
.LBB117_105:
	v_add_co_u32_e32 v6, vcc, 0x1000, v0
	s_nop 1
	v_addc_co_u32_e32 v7, vcc, 0, v1, vcc
	s_waitcnt lgkmcnt(14)
	global_store_short v[6:7], v19, off
	s_or_b64 exec, exec, s[0:1]
	s_and_saveexec_b64 s[0:1], s[18:19]
	s_cbranch_execz .LBB117_82
.LBB117_106:
	v_add_co_u32_e32 v6, vcc, 0x1000, v0
	s_nop 1
	v_addc_co_u32_e32 v7, vcc, 0, v1, vcc
	s_waitcnt lgkmcnt(14)
	global_store_short v[6:7], v18, off offset:512
	s_or_b64 exec, exec, s[0:1]
	s_and_saveexec_b64 s[0:1], s[20:21]
	s_cbranch_execz .LBB117_83
.LBB117_107:
	v_add_co_u32_e32 v6, vcc, 0x1000, v0
	s_nop 1
	v_addc_co_u32_e32 v7, vcc, 0, v1, vcc
	s_waitcnt lgkmcnt(13)
	global_store_short v[6:7], v17, off offset:1024
	s_or_b64 exec, exec, s[0:1]
	s_and_saveexec_b64 s[0:1], s[22:23]
	s_cbranch_execz .LBB117_84
.LBB117_108:
	v_add_co_u32_e32 v6, vcc, 0x1000, v0
	s_nop 1
	v_addc_co_u32_e32 v7, vcc, 0, v1, vcc
	s_waitcnt lgkmcnt(12)
	global_store_short v[6:7], v16, off offset:1536
	s_or_b64 exec, exec, s[0:1]
	s_and_saveexec_b64 s[0:1], s[24:25]
	s_cbranch_execz .LBB117_85
.LBB117_109:
	v_add_co_u32_e32 v6, vcc, 0x1000, v0
	s_nop 1
	v_addc_co_u32_e32 v7, vcc, 0, v1, vcc
	s_waitcnt lgkmcnt(11)
	global_store_short v[6:7], v15, off offset:2048
	s_or_b64 exec, exec, s[0:1]
	s_and_saveexec_b64 s[0:1], s[26:27]
	s_cbranch_execz .LBB117_86
.LBB117_110:
	v_add_co_u32_e32 v6, vcc, 0x1000, v0
	s_nop 1
	v_addc_co_u32_e32 v7, vcc, 0, v1, vcc
	s_waitcnt lgkmcnt(10)
	global_store_short v[6:7], v14, off offset:2560
	s_or_b64 exec, exec, s[0:1]
	s_and_saveexec_b64 s[0:1], s[28:29]
	s_cbranch_execz .LBB117_87
.LBB117_111:
	v_add_co_u32_e32 v6, vcc, 0x1000, v0
	s_nop 1
	v_addc_co_u32_e32 v7, vcc, 0, v1, vcc
	s_waitcnt lgkmcnt(9)
	global_store_short v[6:7], v13, off offset:3072
	s_or_b64 exec, exec, s[0:1]
	s_and_saveexec_b64 s[0:1], s[30:31]
	s_cbranch_execz .LBB117_88
.LBB117_112:
	v_add_co_u32_e32 v6, vcc, 0x1000, v0
	s_nop 1
	v_addc_co_u32_e32 v7, vcc, 0, v1, vcc
	s_waitcnt lgkmcnt(8)
	global_store_short v[6:7], v12, off offset:3584
	s_or_b64 exec, exec, s[0:1]
	s_and_saveexec_b64 s[0:1], s[34:35]
	s_cbranch_execz .LBB117_89
.LBB117_113:
	v_add_co_u32_e32 v6, vcc, 0x2000, v0
	s_nop 1
	v_addc_co_u32_e32 v7, vcc, 0, v1, vcc
	s_waitcnt lgkmcnt(7)
	global_store_short v[6:7], v11, off
	s_or_b64 exec, exec, s[0:1]
	s_and_saveexec_b64 s[0:1], s[36:37]
	s_cbranch_execz .LBB117_90
.LBB117_114:
	v_add_co_u32_e32 v6, vcc, 0x2000, v0
	s_nop 1
	v_addc_co_u32_e32 v7, vcc, 0, v1, vcc
	s_waitcnt lgkmcnt(6)
	global_store_short v[6:7], v10, off offset:512
	s_or_b64 exec, exec, s[0:1]
	s_and_saveexec_b64 s[0:1], s[38:39]
	s_cbranch_execz .LBB117_91
.LBB117_115:
	v_add_co_u32_e32 v6, vcc, 0x2000, v0
	s_nop 1
	v_addc_co_u32_e32 v7, vcc, 0, v1, vcc
	s_waitcnt lgkmcnt(5)
	global_store_short v[6:7], v9, off offset:1024
	s_or_b64 exec, exec, s[0:1]
	s_and_saveexec_b64 s[0:1], s[40:41]
	s_cbranch_execz .LBB117_92
.LBB117_116:
	v_add_co_u32_e32 v6, vcc, 0x2000, v0
	s_nop 1
	v_addc_co_u32_e32 v7, vcc, 0, v1, vcc
	s_waitcnt lgkmcnt(4)
	global_store_short v[6:7], v8, off offset:1536
	s_or_b64 exec, exec, s[0:1]
	s_and_saveexec_b64 s[0:1], s[42:43]
	s_cbranch_execz .LBB117_93
.LBB117_117:
	v_add_co_u32_e32 v6, vcc, 0x2000, v0
	s_nop 1
	v_addc_co_u32_e32 v7, vcc, 0, v1, vcc
	s_waitcnt lgkmcnt(3)
	global_store_short v[6:7], v5, off offset:2048
	s_or_b64 exec, exec, s[0:1]
	s_and_saveexec_b64 s[0:1], s[44:45]
	s_cbranch_execz .LBB117_94
.LBB117_118:
	v_add_co_u32_e32 v6, vcc, 0x2000, v0
	s_nop 1
	v_addc_co_u32_e32 v7, vcc, 0, v1, vcc
	s_waitcnt lgkmcnt(2)
	global_store_short v[6:7], v4, off offset:2560
	s_or_b64 exec, exec, s[0:1]
	s_and_saveexec_b64 s[0:1], s[46:47]
	s_cbranch_execz .LBB117_95
.LBB117_119:
	s_waitcnt lgkmcnt(2)
	v_add_co_u32_e32 v4, vcc, 0x2000, v0
	s_nop 1
	v_addc_co_u32_e32 v5, vcc, 0, v1, vcc
	s_waitcnt lgkmcnt(1)
	global_store_short v[4:5], v3, off offset:3072
	s_or_b64 exec, exec, s[0:1]
	s_and_saveexec_b64 s[0:1], s[48:49]
	s_cbranch_execz .LBB117_96
.LBB117_120:
	v_add_co_u32_e32 v0, vcc, 0x2000, v0
	s_nop 1
	v_addc_co_u32_e32 v1, vcc, 0, v1, vcc
	s_waitcnt lgkmcnt(0)
	global_store_short v[0:1], v2, off offset:3584
	s_endpgm
	.section	.rodata,"a",@progbits
	.p2align	6, 0x0
	.amdhsa_kernel _ZN7rocprim17ROCPRIM_304000_NS6detail18single_scan_kernelILb0ENS1_19wrapped_scan_configINS0_14default_configEN3c108BFloat16EEEPKS6_PS6_St4plusIS6_ES6_S6_EEvT1_mT4_T2_T3_
		.amdhsa_group_segment_fixed_size 12288
		.amdhsa_private_segment_fixed_size 0
		.amdhsa_kernarg_size 36
		.amdhsa_user_sgpr_count 2
		.amdhsa_user_sgpr_dispatch_ptr 0
		.amdhsa_user_sgpr_queue_ptr 0
		.amdhsa_user_sgpr_kernarg_segment_ptr 1
		.amdhsa_user_sgpr_dispatch_id 0
		.amdhsa_user_sgpr_kernarg_preload_length 0
		.amdhsa_user_sgpr_kernarg_preload_offset 0
		.amdhsa_user_sgpr_private_segment_size 0
		.amdhsa_uses_dynamic_stack 0
		.amdhsa_enable_private_segment 0
		.amdhsa_system_sgpr_workgroup_id_x 1
		.amdhsa_system_sgpr_workgroup_id_y 0
		.amdhsa_system_sgpr_workgroup_id_z 0
		.amdhsa_system_sgpr_workgroup_info 0
		.amdhsa_system_vgpr_workitem_id 0
		.amdhsa_next_free_vgpr 36
		.amdhsa_next_free_sgpr 56
		.amdhsa_accum_offset 36
		.amdhsa_reserve_vcc 1
		.amdhsa_float_round_mode_32 0
		.amdhsa_float_round_mode_16_64 0
		.amdhsa_float_denorm_mode_32 3
		.amdhsa_float_denorm_mode_16_64 3
		.amdhsa_dx10_clamp 1
		.amdhsa_ieee_mode 1
		.amdhsa_fp16_overflow 0
		.amdhsa_tg_split 0
		.amdhsa_exception_fp_ieee_invalid_op 0
		.amdhsa_exception_fp_denorm_src 0
		.amdhsa_exception_fp_ieee_div_zero 0
		.amdhsa_exception_fp_ieee_overflow 0
		.amdhsa_exception_fp_ieee_underflow 0
		.amdhsa_exception_fp_ieee_inexact 0
		.amdhsa_exception_int_div_zero 0
	.end_amdhsa_kernel
	.section	.text._ZN7rocprim17ROCPRIM_304000_NS6detail18single_scan_kernelILb0ENS1_19wrapped_scan_configINS0_14default_configEN3c108BFloat16EEEPKS6_PS6_St4plusIS6_ES6_S6_EEvT1_mT4_T2_T3_,"axG",@progbits,_ZN7rocprim17ROCPRIM_304000_NS6detail18single_scan_kernelILb0ENS1_19wrapped_scan_configINS0_14default_configEN3c108BFloat16EEEPKS6_PS6_St4plusIS6_ES6_S6_EEvT1_mT4_T2_T3_,comdat
.Lfunc_end117:
	.size	_ZN7rocprim17ROCPRIM_304000_NS6detail18single_scan_kernelILb0ENS1_19wrapped_scan_configINS0_14default_configEN3c108BFloat16EEEPKS6_PS6_St4plusIS6_ES6_S6_EEvT1_mT4_T2_T3_, .Lfunc_end117-_ZN7rocprim17ROCPRIM_304000_NS6detail18single_scan_kernelILb0ENS1_19wrapped_scan_configINS0_14default_configEN3c108BFloat16EEEPKS6_PS6_St4plusIS6_ES6_S6_EEvT1_mT4_T2_T3_
                                        ; -- End function
	.section	.AMDGPU.csdata,"",@progbits
; Kernel info:
; codeLenInByte = 5928
; NumSgprs: 62
; NumVgprs: 36
; NumAgprs: 0
; TotalNumVgprs: 36
; ScratchSize: 0
; MemoryBound: 0
; FloatMode: 240
; IeeeMode: 1
; LDSByteSize: 12288 bytes/workgroup (compile time only)
; SGPRBlocks: 7
; VGPRBlocks: 4
; NumSGPRsForWavesPerEU: 62
; NumVGPRsForWavesPerEU: 36
; AccumOffset: 36
; Occupancy: 5
; WaveLimiterHint : 0
; COMPUTE_PGM_RSRC2:SCRATCH_EN: 0
; COMPUTE_PGM_RSRC2:USER_SGPR: 2
; COMPUTE_PGM_RSRC2:TRAP_HANDLER: 0
; COMPUTE_PGM_RSRC2:TGID_X_EN: 1
; COMPUTE_PGM_RSRC2:TGID_Y_EN: 0
; COMPUTE_PGM_RSRC2:TGID_Z_EN: 0
; COMPUTE_PGM_RSRC2:TIDIG_COMP_CNT: 0
; COMPUTE_PGM_RSRC3_GFX90A:ACCUM_OFFSET: 8
; COMPUTE_PGM_RSRC3_GFX90A:TG_SPLIT: 0
	.section	.text._ZN2at6native32tensor_kernel_scan_innermost_dimIN3c108BFloat16ESt4plusIS3_EEEvPT_PKS6_jjjS6_T0_,"axG",@progbits,_ZN2at6native32tensor_kernel_scan_innermost_dimIN3c108BFloat16ESt4plusIS3_EEEvPT_PKS6_jjjS6_T0_,comdat
	.protected	_ZN2at6native32tensor_kernel_scan_innermost_dimIN3c108BFloat16ESt4plusIS3_EEEvPT_PKS6_jjjS6_T0_ ; -- Begin function _ZN2at6native32tensor_kernel_scan_innermost_dimIN3c108BFloat16ESt4plusIS3_EEEvPT_PKS6_jjjS6_T0_
	.globl	_ZN2at6native32tensor_kernel_scan_innermost_dimIN3c108BFloat16ESt4plusIS3_EEEvPT_PKS6_jjjS6_T0_
	.p2align	8
	.type	_ZN2at6native32tensor_kernel_scan_innermost_dimIN3c108BFloat16ESt4plusIS3_EEEvPT_PKS6_jjjS6_T0_,@function
_ZN2at6native32tensor_kernel_scan_innermost_dimIN3c108BFloat16ESt4plusIS3_EEEvPT_PKS6_jjjS6_T0_: ; @_ZN2at6native32tensor_kernel_scan_innermost_dimIN3c108BFloat16ESt4plusIS3_EEEvPT_PKS6_jjjS6_T0_
; %bb.0:
	s_load_dwordx8 s[12:19], s[0:1], 0x0
	v_bfe_u32 v2, v0, 10, 10
	s_waitcnt lgkmcnt(0)
	s_lshl_b32 s3, 2, s18
	v_mul_lo_u32 v1, s3, v2
	s_mul_hi_u32 s4, s16, s17
	s_mov_b32 s20, s16
	v_lshl_add_u32 v20, v1, 1, 0
	s_cmp_lg_u32 s4, 0
	s_mov_b64 s[4:5], -1
	s_cbranch_scc1 .LBB118_26
; %bb.1:
	s_load_dword s6, s[0:1], 0x2c
	s_add_u32 s4, s0, 32
	s_addc_u32 s5, s1, 0
	s_waitcnt lgkmcnt(0)
	s_lshr_b32 s6, s6, 16
	s_mul_i32 s21, s2, s6
	s_cmp_ge_u32 s21, s16
	s_cbranch_scc1 .LBB118_25
; %bb.2:
	s_load_dword s27, s[4:5], 0x0
	s_lshl_b32 s26, 1, s18
	s_cmp_lg_u32 s17, 0
	v_and_b32_e32 v1, 0x3ff, v0
	s_cselect_b64 s[4:5], -1, 0
	v_lshl_add_u32 v3, v1, 1, v20
	v_add_u32_e32 v13, -2, v20
	v_cndmask_b32_e64 v4, 0, 1, s[4:5]
	v_lshl_add_u32 v12, s26, 1, v3
	v_cmp_eq_u32_e64 s[8:9], 0, v1
	v_lshl_add_u32 v14, s3, 1, v13
	s_waitcnt lgkmcnt(0)
	s_mul_i32 s27, s27, s6
	s_add_i32 s28, s18, 1
	v_cmp_ne_u32_e64 s[4:5], 1, v4
	v_mov_b32_e32 v5, 0
	s_movk_i32 s29, 0x7fff
	v_mov_b32_e32 v15, 0x7fc0
	s_branch .LBB118_4
.LBB118_3:                              ;   in Loop: Header=BB118_4 Depth=1
	s_add_i32 s21, s21, s27
	s_cmp_ge_u32 s21, s16
	s_cbranch_scc1 .LBB118_25
.LBB118_4:                              ; =>This Loop Header: Depth=1
                                        ;     Child Loop BB118_7 Depth 2
                                        ;       Child Loop BB118_16 Depth 3
	s_and_b64 vcc, exec, s[4:5]
	s_cbranch_vccnz .LBB118_3
; %bb.5:                                ;   in Loop: Header=BB118_4 Depth=1
	v_add_u32_e32 v10, s21, v2
	v_mul_lo_u32 v4, v10, s17
	v_lshlrev_b64 v[8:9], 1, v[4:5]
	v_lshl_add_u64 v[6:7], s[14:15], 0, v[8:9]
	v_lshl_add_u64 v[8:9], s[12:13], 0, v[8:9]
	v_cmp_gt_u32_e32 vcc, s16, v10
	v_cmp_le_u32_e64 s[6:7], s16, v10
	s_mov_b32 s30, 0
	v_mov_b32_e32 v16, s19
	s_branch .LBB118_7
.LBB118_6:                              ;   in Loop: Header=BB118_7 Depth=2
	s_or_b64 exec, exec, s[22:23]
	ds_read_u16 v16, v14
	s_add_i32 s30, s30, s3
	s_cmp_ge_u32 s30, s17
	s_waitcnt lgkmcnt(0)
	s_barrier
	s_cbranch_scc1 .LBB118_3
.LBB118_7:                              ;   Parent Loop BB118_4 Depth=1
                                        ; =>  This Loop Header: Depth=2
                                        ;       Child Loop BB118_16 Depth 3
	v_add_u32_e32 v4, s30, v1
	v_add_u32_e32 v10, s26, v4
	s_and_saveexec_b64 s[22:23], vcc
	s_cbranch_execz .LBB118_14
; %bb.8:                                ;   in Loop: Header=BB118_7 Depth=2
	v_cmp_gt_u32_e64 s[10:11], s17, v4
	v_mov_b32_e32 v11, s19
	s_and_saveexec_b64 s[24:25], s[10:11]
	s_cbranch_execz .LBB118_10
; %bb.9:                                ;   in Loop: Header=BB118_7 Depth=2
	v_lshl_add_u64 v[18:19], v[4:5], 1, v[6:7]
	global_load_ushort v11, v[18:19], off
.LBB118_10:                             ;   in Loop: Header=BB118_7 Depth=2
	s_or_b64 exec, exec, s[24:25]
	s_waitcnt vmcnt(0)
	ds_write_b16 v3, v11
	v_cmp_gt_u32_e64 s[10:11], s17, v10
	v_mov_b32_e32 v11, s19
	s_and_saveexec_b64 s[24:25], s[10:11]
	s_cbranch_execz .LBB118_12
; %bb.11:                               ;   in Loop: Header=BB118_7 Depth=2
	v_mov_b32_e32 v11, v5
	v_lshl_add_u64 v[18:19], v[10:11], 1, v[6:7]
	global_load_ushort v11, v[18:19], off
.LBB118_12:                             ;   in Loop: Header=BB118_7 Depth=2
	s_or_b64 exec, exec, s[24:25]
	s_waitcnt vmcnt(0)
	ds_write_b16 v12, v11
	s_and_b64 exec, exec, s[8:9]
	s_cbranch_execz .LBB118_14
; %bb.13:                               ;   in Loop: Header=BB118_7 Depth=2
	ds_read_u16 v11, v20
	v_lshlrev_b32_e32 v16, 16, v16
	s_waitcnt lgkmcnt(0)
	v_lshlrev_b32_e32 v11, 16, v11
	v_add_f32_e32 v11, v11, v16
	v_bfe_u32 v16, v11, 16, 1
	v_add3_u32 v16, v11, v16, s29
	v_lshrrev_b32_e32 v16, 16, v16
	v_cmp_o_f32_e64 s[10:11], v11, v11
	s_nop 1
	v_cndmask_b32_e64 v11, v15, v16, s[10:11]
	ds_write_b16 v20, v11
.LBB118_14:                             ;   in Loop: Header=BB118_7 Depth=2
	s_or_b64 exec, exec, s[22:23]
	s_mov_b64 s[22:23], 0
	v_mov_b32_e32 v11, 0
	s_waitcnt lgkmcnt(0)
	s_barrier
	s_branch .LBB118_16
.LBB118_15:                             ;   in Loop: Header=BB118_16 Depth=3
	s_or_b64 exec, exec, s[24:25]
	v_cmp_eq_u32_e64 s[10:11], s28, v11
	s_or_b64 s[22:23], s[10:11], s[22:23]
	s_waitcnt lgkmcnt(0)
	s_barrier
	s_andn2_b64 exec, exec, s[22:23]
	s_cbranch_execz .LBB118_20
.LBB118_16:                             ;   Parent Loop BB118_4 Depth=1
                                        ;     Parent Loop BB118_7 Depth=2
                                        ; =>    This Inner Loop Header: Depth=3
	v_add_u32_e32 v16, 1, v11
	s_and_saveexec_b64 s[10:11], s[6:7]
	s_xor_b64 s[10:11], exec, s[10:11]
; %bb.17:                               ;   in Loop: Header=BB118_16 Depth=3
	v_add_u32_e32 v11, 1, v11
                                        ; implicit-def: $vgpr16
; %bb.18:                               ;   in Loop: Header=BB118_16 Depth=3
	s_andn2_saveexec_b64 s[24:25], s[10:11]
	s_cbranch_execz .LBB118_15
; %bb.19:                               ;   in Loop: Header=BB118_16 Depth=3
	v_lshlrev_b32_e64 v17, v11, 1
	v_lshrrev_b32_e32 v18, v11, v1
	v_bfm_b32 v11, v11, 0
	v_lshl_or_b32 v17, v18, v16, v17
	v_and_b32_e32 v11, v11, v1
	v_lshlrev_b32_e32 v17, 1, v17
	v_lshlrev_b32_e32 v11, 1, v11
	v_add3_u32 v11, v20, v17, v11
	v_add_u32_e32 v17, v13, v17
	ds_read_u16 v18, v11
	ds_read_u16 v17, v17
	s_waitcnt lgkmcnt(1)
	v_lshlrev_b32_e32 v18, 16, v18
	s_waitcnt lgkmcnt(0)
	v_lshlrev_b32_e32 v17, 16, v17
	v_add_f32_e32 v17, v17, v18
	v_bfe_u32 v18, v17, 16, 1
	v_add3_u32 v18, v17, v18, s29
	v_lshrrev_b32_e32 v18, 16, v18
	v_cmp_o_f32_e64 s[10:11], v17, v17
	s_nop 1
	v_cndmask_b32_e64 v17, v15, v18, s[10:11]
	ds_write_b16 v11, v17
	v_mov_b32_e32 v11, v16
	s_branch .LBB118_15
.LBB118_20:                             ;   in Loop: Header=BB118_7 Depth=2
	s_or_b64 exec, exec, s[22:23]
	s_and_saveexec_b64 s[22:23], vcc
	s_cbranch_execz .LBB118_6
; %bb.21:                               ;   in Loop: Header=BB118_7 Depth=2
	v_cmp_gt_u32_e64 s[10:11], s17, v4
	s_and_saveexec_b64 s[24:25], s[10:11]
	s_cbranch_execz .LBB118_23
; %bb.22:                               ;   in Loop: Header=BB118_7 Depth=2
	ds_read_u16 v11, v3
	v_lshl_add_u64 v[16:17], v[4:5], 1, v[8:9]
	s_waitcnt lgkmcnt(0)
	global_store_short v[16:17], v11, off
.LBB118_23:                             ;   in Loop: Header=BB118_7 Depth=2
	s_or_b64 exec, exec, s[24:25]
	v_cmp_gt_u32_e64 s[10:11], s17, v10
	s_and_b64 exec, exec, s[10:11]
	s_cbranch_execz .LBB118_6
; %bb.24:                               ;   in Loop: Header=BB118_7 Depth=2
	ds_read_u16 v4, v12
	v_mov_b32_e32 v11, v5
	v_lshl_add_u64 v[10:11], v[10:11], 1, v[8:9]
	s_waitcnt lgkmcnt(0)
	global_store_short v[10:11], v4, off
	s_branch .LBB118_6
.LBB118_25:
	s_mov_b64 s[4:5], 0
.LBB118_26:
	s_andn2_b64 vcc, exec, s[4:5]
	s_cbranch_vccnz .LBB118_53
; %bb.27:
	s_load_dword s3, s[0:1], 0x2c
	s_add_u32 s4, s0, 32
	s_mov_b32 s21, 0
	s_addc_u32 s5, s1, 0
	v_mov_b64_e32 v[4:5], s[20:21]
	s_waitcnt lgkmcnt(0)
	s_lshr_b32 s0, s3, 16
	s_mul_hi_u32 s9, s0, s2
	s_mul_i32 s8, s0, s2
	v_cmp_ge_u64_e32 vcc, s[8:9], v[4:5]
	s_cbranch_vccnz .LBB118_53
; %bb.28:
	s_lshl_b32 s10, 1, s18
	s_load_dword s4, s[4:5], 0x0
	s_and_b32 s6, 0xffff, s0
	s_ashr_i32 s11, s10, 31
	s_cmp_lg_u32 s17, 0
	s_mov_b32 s22, s17
	v_and_b32_e32 v0, 0x3ff, v0
	s_cselect_b64 s[2:3], -1, 0
	s_lshl_b64 s[16:17], s[10:11], 1
	v_mov_b32_e32 v3, 0
	s_mov_b32 s23, s21
	v_lshl_add_u32 v21, v0, 1, v20
	s_lshl_b32 s5, s16, 1
	v_cndmask_b32_e64 v4, 0, 1, s[2:3]
	v_mov_b32_e32 v1, v3
	v_lshl_add_u32 v22, s10, 1, v21
	v_cmp_eq_u32_e64 s[0:1], 0, v0
	v_add3_u32 v23, v20, s5, -2
	s_waitcnt lgkmcnt(0)
	s_mul_i32 s33, s4, s6
	s_add_i32 s18, s18, 1
	v_cmp_ne_u32_e64 s[2:3], 1, v4
	s_movk_i32 s34, 0x7fff
	v_mov_b64_e32 v[4:5], s[20:21]
	v_mov_b32_e32 v24, 0x7fc0
	v_mov_b64_e32 v[6:7], s[22:23]
	s_branch .LBB118_30
.LBB118_29:                             ;   in Loop: Header=BB118_30 Depth=1
	s_add_u32 s8, s8, s33
	s_addc_u32 s9, s9, 0
	v_cmp_ge_u64_e32 vcc, s[8:9], v[4:5]
	s_cbranch_vccnz .LBB118_53
.LBB118_30:                             ; =>This Loop Header: Depth=1
                                        ;     Child Loop BB118_33 Depth 2
                                        ;       Child Loop BB118_43 Depth 3
	s_and_b64 vcc, exec, s[2:3]
	s_cbranch_vccnz .LBB118_29
; %bb.31:                               ;   in Loop: Header=BB118_30 Depth=1
	v_lshl_add_u64 v[12:13], s[8:9], 0, v[2:3]
	v_mad_u64_u32 v[8:9], s[4:5], v12, s22, 0
	v_mov_b32_e32 v10, v9
	v_mad_u64_u32 v[10:11], s[4:5], v13, s22, v[10:11]
	v_mov_b32_e32 v9, v10
	v_lshlrev_b64 v[10:11], 1, v[8:9]
	v_lshl_add_u64 v[8:9], s[14:15], 0, v[10:11]
	v_lshl_add_u64 v[10:11], s[12:13], 0, v[10:11]
	v_cmp_gt_u64_e64 s[4:5], s[20:21], v[12:13]
	v_cmp_le_u64_e64 s[6:7], s[20:21], v[12:13]
	s_mov_b64 s[24:25], 0
	v_mov_b32_e32 v16, s19
	s_branch .LBB118_33
.LBB118_32:                             ;   in Loop: Header=BB118_33 Depth=2
	s_or_b64 exec, exec, s[26:27]
	ds_read_u16 v16, v23
	s_add_u32 s24, s24, s16
	s_addc_u32 s25, s25, s17
	v_cmp_ge_u64_e32 vcc, s[24:25], v[6:7]
	s_waitcnt lgkmcnt(0)
	s_barrier
	s_cbranch_vccnz .LBB118_29
.LBB118_33:                             ;   Parent Loop BB118_30 Depth=1
                                        ; =>  This Loop Header: Depth=2
                                        ;       Child Loop BB118_43 Depth 3
	v_lshl_add_u64 v[14:15], s[24:25], 0, v[0:1]
	v_lshl_add_u64 v[12:13], v[14:15], 0, s[10:11]
	s_and_saveexec_b64 s[26:27], s[4:5]
	s_cbranch_execz .LBB118_40
; %bb.34:                               ;   in Loop: Header=BB118_33 Depth=2
	v_cmp_gt_u64_e32 vcc, s[22:23], v[14:15]
	v_mov_b32_e32 v17, s19
	s_and_saveexec_b64 s[28:29], vcc
	s_cbranch_execz .LBB118_36
; %bb.35:                               ;   in Loop: Header=BB118_33 Depth=2
	v_lshl_add_u64 v[18:19], v[14:15], 1, v[8:9]
	global_load_ushort v17, v[18:19], off
.LBB118_36:                             ;   in Loop: Header=BB118_33 Depth=2
	s_or_b64 exec, exec, s[28:29]
	s_waitcnt vmcnt(0)
	ds_write_b16 v21, v17
	v_cmp_gt_u64_e32 vcc, s[22:23], v[12:13]
	v_mov_b32_e32 v17, s19
	s_and_saveexec_b64 s[28:29], vcc
	s_cbranch_execz .LBB118_38
; %bb.37:                               ;   in Loop: Header=BB118_33 Depth=2
	v_lshl_add_u64 v[18:19], v[12:13], 1, v[8:9]
	global_load_ushort v17, v[18:19], off
.LBB118_38:                             ;   in Loop: Header=BB118_33 Depth=2
	s_or_b64 exec, exec, s[28:29]
	s_waitcnt vmcnt(0)
	ds_write_b16 v22, v17
	s_and_b64 exec, exec, s[0:1]
	s_cbranch_execz .LBB118_40
; %bb.39:                               ;   in Loop: Header=BB118_33 Depth=2
	ds_read_u16 v17, v20
	v_lshlrev_b32_e32 v16, 16, v16
	s_waitcnt lgkmcnt(0)
	v_lshlrev_b32_e32 v17, 16, v17
	v_add_f32_e32 v16, v17, v16
	v_bfe_u32 v17, v16, 16, 1
	v_add3_u32 v17, v16, v17, s34
	v_lshrrev_b32_e32 v17, 16, v17
	v_cmp_o_f32_e32 vcc, v16, v16
	s_nop 1
	v_cndmask_b32_e32 v16, v24, v17, vcc
	ds_write_b16 v20, v16
.LBB118_40:                             ;   in Loop: Header=BB118_33 Depth=2
	s_or_b64 exec, exec, s[26:27]
	s_mov_b64 s[26:27], 0
	v_mov_b32_e32 v26, 0
	s_waitcnt lgkmcnt(0)
	s_barrier
	s_branch .LBB118_43
.LBB118_41:                             ;   in Loop: Header=BB118_43 Depth=3
	s_or_b64 exec, exec, s[30:31]
	v_lshrrev_b32_e32 v17, v26, v0
	v_lshl_or_b32 v16, v17, v25, v16
	v_lshl_add_u32 v16, v16, 1, v20
	v_lshl_add_u32 v17, v18, 1, v16
	v_add_u32_e32 v16, -2, v16
	ds_read_u16 v18, v17
	ds_read_u16 v16, v16
	s_waitcnt lgkmcnt(1)
	v_lshlrev_b32_e32 v18, 16, v18
	s_waitcnt lgkmcnt(0)
	v_lshlrev_b32_e32 v16, 16, v16
	v_add_f32_e32 v16, v16, v18
	v_bfe_u32 v18, v16, 16, 1
	v_add3_u32 v18, v16, v18, s34
	v_lshrrev_b32_e32 v18, 16, v18
	v_cmp_o_f32_e32 vcc, v16, v16
	s_nop 1
	v_cndmask_b32_e32 v16, v24, v18, vcc
	ds_write_b16 v17, v16
.LBB118_42:                             ;   in Loop: Header=BB118_43 Depth=3
	s_or_b64 exec, exec, s[28:29]
	v_cmp_eq_u32_e32 vcc, s18, v25
	s_or_b64 s[26:27], vcc, s[26:27]
	v_mov_b32_e32 v26, v25
	s_waitcnt lgkmcnt(0)
	s_barrier
	s_andn2_b64 exec, exec, s[26:27]
	s_cbranch_execz .LBB118_48
.LBB118_43:                             ;   Parent Loop BB118_30 Depth=1
                                        ;     Parent Loop BB118_33 Depth=2
                                        ; =>    This Inner Loop Header: Depth=3
	v_add_u32_e32 v25, 1, v26
	s_and_saveexec_b64 s[28:29], s[6:7]
	s_xor_b64 s[28:29], exec, s[28:29]
; %bb.44:                               ;   in Loop: Header=BB118_43 Depth=3
	v_add_u32_e32 v25, 1, v26
                                        ; implicit-def: $vgpr26
; %bb.45:                               ;   in Loop: Header=BB118_43 Depth=3
	s_andn2_saveexec_b64 s[28:29], s[28:29]
	s_cbranch_execz .LBB118_42
; %bb.46:                               ;   in Loop: Header=BB118_43 Depth=3
	v_lshlrev_b32_e64 v16, v26, 1
	v_ashrrev_i32_e32 v17, 31, v16
	v_cmp_ge_u64_e32 vcc, v[0:1], v[16:17]
	v_mov_b64_e32 v[18:19], v[0:1]
	s_and_saveexec_b64 s[30:31], vcc
	s_cbranch_execz .LBB118_41
; %bb.47:                               ;   in Loop: Header=BB118_43 Depth=3
	v_cvt_f32_u32_e32 v17, v16
	v_sub_u32_e32 v18, 0, v16
	v_rcp_iflag_f32_e32 v17, v17
	s_nop 0
	v_mul_f32_e32 v17, 0x4f7ffffe, v17
	v_cvt_u32_f32_e32 v17, v17
	v_mul_lo_u32 v18, v18, v17
	v_mul_hi_u32 v18, v17, v18
	v_add_u32_e32 v17, v17, v18
	v_mul_hi_u32 v17, v0, v17
	v_mul_lo_u32 v17, v17, v16
	v_sub_u32_e32 v17, v0, v17
	v_sub_u32_e32 v18, v17, v16
	v_cmp_ge_u32_e32 vcc, v17, v16
	s_nop 1
	v_cndmask_b32_e32 v17, v17, v18, vcc
	v_sub_u32_e32 v18, v17, v16
	v_cmp_ge_u32_e32 vcc, v17, v16
	s_nop 1
	v_cndmask_b32_e32 v18, v17, v18, vcc
	s_branch .LBB118_41
.LBB118_48:                             ;   in Loop: Header=BB118_33 Depth=2
	s_or_b64 exec, exec, s[26:27]
	s_and_saveexec_b64 s[26:27], s[4:5]
	s_cbranch_execz .LBB118_32
; %bb.49:                               ;   in Loop: Header=BB118_33 Depth=2
	v_cmp_gt_u64_e32 vcc, s[22:23], v[14:15]
	s_and_saveexec_b64 s[28:29], vcc
	s_cbranch_execz .LBB118_51
; %bb.50:                               ;   in Loop: Header=BB118_33 Depth=2
	ds_read_u16 v16, v21
	v_lshl_add_u64 v[14:15], v[14:15], 1, v[10:11]
	s_waitcnt lgkmcnt(0)
	global_store_short v[14:15], v16, off
.LBB118_51:                             ;   in Loop: Header=BB118_33 Depth=2
	s_or_b64 exec, exec, s[28:29]
	v_cmp_gt_u64_e32 vcc, s[22:23], v[12:13]
	s_and_b64 exec, exec, vcc
	s_cbranch_execz .LBB118_32
; %bb.52:                               ;   in Loop: Header=BB118_33 Depth=2
	ds_read_u16 v14, v22
	v_lshl_add_u64 v[12:13], v[12:13], 1, v[10:11]
	s_waitcnt lgkmcnt(0)
	global_store_short v[12:13], v14, off
	s_branch .LBB118_32
.LBB118_53:
	s_endpgm
	.section	.rodata,"a",@progbits
	.p2align	6, 0x0
	.amdhsa_kernel _ZN2at6native32tensor_kernel_scan_innermost_dimIN3c108BFloat16ESt4plusIS3_EEEvPT_PKS6_jjjS6_T0_
		.amdhsa_group_segment_fixed_size 0
		.amdhsa_private_segment_fixed_size 0
		.amdhsa_kernarg_size 288
		.amdhsa_user_sgpr_count 2
		.amdhsa_user_sgpr_dispatch_ptr 0
		.amdhsa_user_sgpr_queue_ptr 0
		.amdhsa_user_sgpr_kernarg_segment_ptr 1
		.amdhsa_user_sgpr_dispatch_id 0
		.amdhsa_user_sgpr_kernarg_preload_length 0
		.amdhsa_user_sgpr_kernarg_preload_offset 0
		.amdhsa_user_sgpr_private_segment_size 0
		.amdhsa_uses_dynamic_stack 0
		.amdhsa_enable_private_segment 0
		.amdhsa_system_sgpr_workgroup_id_x 1
		.amdhsa_system_sgpr_workgroup_id_y 0
		.amdhsa_system_sgpr_workgroup_id_z 0
		.amdhsa_system_sgpr_workgroup_info 0
		.amdhsa_system_vgpr_workitem_id 1
		.amdhsa_next_free_vgpr 27
		.amdhsa_next_free_sgpr 35
		.amdhsa_accum_offset 28
		.amdhsa_reserve_vcc 1
		.amdhsa_float_round_mode_32 0
		.amdhsa_float_round_mode_16_64 0
		.amdhsa_float_denorm_mode_32 3
		.amdhsa_float_denorm_mode_16_64 3
		.amdhsa_dx10_clamp 1
		.amdhsa_ieee_mode 1
		.amdhsa_fp16_overflow 0
		.amdhsa_tg_split 0
		.amdhsa_exception_fp_ieee_invalid_op 0
		.amdhsa_exception_fp_denorm_src 0
		.amdhsa_exception_fp_ieee_div_zero 0
		.amdhsa_exception_fp_ieee_overflow 0
		.amdhsa_exception_fp_ieee_underflow 0
		.amdhsa_exception_fp_ieee_inexact 0
		.amdhsa_exception_int_div_zero 0
	.end_amdhsa_kernel
	.section	.text._ZN2at6native32tensor_kernel_scan_innermost_dimIN3c108BFloat16ESt4plusIS3_EEEvPT_PKS6_jjjS6_T0_,"axG",@progbits,_ZN2at6native32tensor_kernel_scan_innermost_dimIN3c108BFloat16ESt4plusIS3_EEEvPT_PKS6_jjjS6_T0_,comdat
.Lfunc_end118:
	.size	_ZN2at6native32tensor_kernel_scan_innermost_dimIN3c108BFloat16ESt4plusIS3_EEEvPT_PKS6_jjjS6_T0_, .Lfunc_end118-_ZN2at6native32tensor_kernel_scan_innermost_dimIN3c108BFloat16ESt4plusIS3_EEEvPT_PKS6_jjjS6_T0_
                                        ; -- End function
	.section	.AMDGPU.csdata,"",@progbits
; Kernel info:
; codeLenInByte = 1832
; NumSgprs: 41
; NumVgprs: 27
; NumAgprs: 0
; TotalNumVgprs: 27
; ScratchSize: 0
; MemoryBound: 0
; FloatMode: 240
; IeeeMode: 1
; LDSByteSize: 0 bytes/workgroup (compile time only)
; SGPRBlocks: 5
; VGPRBlocks: 3
; NumSGPRsForWavesPerEU: 41
; NumVGPRsForWavesPerEU: 27
; AccumOffset: 28
; Occupancy: 8
; WaveLimiterHint : 0
; COMPUTE_PGM_RSRC2:SCRATCH_EN: 0
; COMPUTE_PGM_RSRC2:USER_SGPR: 2
; COMPUTE_PGM_RSRC2:TRAP_HANDLER: 0
; COMPUTE_PGM_RSRC2:TGID_X_EN: 1
; COMPUTE_PGM_RSRC2:TGID_Y_EN: 0
; COMPUTE_PGM_RSRC2:TGID_Z_EN: 0
; COMPUTE_PGM_RSRC2:TIDIG_COMP_CNT: 1
; COMPUTE_PGM_RSRC3_GFX90A:ACCUM_OFFSET: 6
; COMPUTE_PGM_RSRC3_GFX90A:TG_SPLIT: 0
	.section	.text._ZN2at6native28tensor_kernel_scan_outer_dimIN3c108BFloat16EjSt4plusIS3_EEEvPT_PKS6_jjjS6_T1_,"axG",@progbits,_ZN2at6native28tensor_kernel_scan_outer_dimIN3c108BFloat16EjSt4plusIS3_EEEvPT_PKS6_jjjS6_T1_,comdat
	.protected	_ZN2at6native28tensor_kernel_scan_outer_dimIN3c108BFloat16EjSt4plusIS3_EEEvPT_PKS6_jjjS6_T1_ ; -- Begin function _ZN2at6native28tensor_kernel_scan_outer_dimIN3c108BFloat16EjSt4plusIS3_EEEvPT_PKS6_jjjS6_T1_
	.globl	_ZN2at6native28tensor_kernel_scan_outer_dimIN3c108BFloat16EjSt4plusIS3_EEEvPT_PKS6_jjjS6_T1_
	.p2align	8
	.type	_ZN2at6native28tensor_kernel_scan_outer_dimIN3c108BFloat16EjSt4plusIS3_EEEvPT_PKS6_jjjS6_T1_,@function
_ZN2at6native28tensor_kernel_scan_outer_dimIN3c108BFloat16EjSt4plusIS3_EEEvPT_PKS6_jjjS6_T1_: ; @_ZN2at6native28tensor_kernel_scan_outer_dimIN3c108BFloat16EjSt4plusIS3_EEEvPT_PKS6_jjjS6_T1_
; %bb.0:
	s_load_dwordx4 s[8:11], s[0:1], 0x10
	s_waitcnt lgkmcnt(0)
	s_cmp_ge_u32 s2, s8
	s_cbranch_scc1 .LBB119_9
; %bb.1:
	s_load_dword s4, s[0:1], 0x2c
	s_load_dwordx4 s[12:15], s[0:1], 0x0
	s_load_dword s26, s[0:1], 0x20
	s_add_u32 s6, s0, 32
	s_addc_u32 s7, s1, 0
	s_waitcnt lgkmcnt(0)
	s_and_b32 s27, s4, 0xffff
	s_mul_i32 s3, s3, s27
	s_cmp_lg_u32 s10, 0
	v_add_u32_e32 v4, s3, v0
	s_mul_i32 s3, s2, s10
	s_cselect_b64 s[4:5], -1, 0
	s_mov_b32 s17, 0
	s_mov_b32 s16, s9
	s_mul_i32 s20, s3, s9
	s_mul_i32 s3, s26, s10
	v_cndmask_b32_e64 v0, 0, 1, s[4:5]
	v_cmp_gt_u32_e64 s[0:1], s9, v4
	s_mul_i32 s3, s3, s9
	s_lshl_b64 s[18:19], s[16:17], 1
	v_cmp_ne_u32_e64 s[4:5], 1, v0
	v_mov_b32_e32 v1, 0
	s_movk_i32 s28, 0x7fff
	v_mov_b32_e32 v5, 0x7fc0
	s_mov_b32 s16, s20
	s_branch .LBB119_3
.LBB119_2:                              ;   in Loop: Header=BB119_3 Depth=1
	s_or_b64 exec, exec, s[20:21]
	s_add_i32 s2, s26, s2
	s_add_i32 s16, s16, s3
	s_cmp_ge_u32 s2, s8
	s_cbranch_scc1 .LBB119_9
.LBB119_3:                              ; =>This Loop Header: Depth=1
                                        ;     Child Loop BB119_6 Depth 2
                                        ;       Child Loop BB119_8 Depth 3
	s_and_saveexec_b64 s[20:21], s[0:1]
	s_cbranch_execz .LBB119_2
; %bb.4:                                ;   in Loop: Header=BB119_3 Depth=1
	s_load_dword s29, s[6:7], 0x4
	s_lshl_b64 s[22:23], s[16:17], 1
	s_mov_b64 s[24:25], 0
	v_mov_b32_e32 v0, v4
	s_waitcnt lgkmcnt(0)
	s_mul_i32 s29, s29, s27
	s_branch .LBB119_6
.LBB119_5:                              ;   in Loop: Header=BB119_6 Depth=2
	v_add_u32_e32 v0, s29, v0
	v_cmp_le_u32_e32 vcc, s9, v0
	s_or_b64 s[24:25], vcc, s[24:25]
	s_andn2_b64 exec, exec, s[24:25]
	s_cbranch_execz .LBB119_2
.LBB119_6:                              ;   Parent Loop BB119_3 Depth=1
                                        ; =>  This Loop Header: Depth=2
                                        ;       Child Loop BB119_8 Depth 3
	s_and_b64 vcc, exec, s[4:5]
	s_cbranch_vccnz .LBB119_5
; %bb.7:                                ;   in Loop: Header=BB119_6 Depth=2
	v_lshl_add_u64 v[2:3], v[0:1], 1, s[22:23]
	v_mov_b32_e32 v6, s11
	s_mov_b32 s30, s10
.LBB119_8:                              ;   Parent Loop BB119_3 Depth=1
                                        ;     Parent Loop BB119_6 Depth=2
                                        ; =>    This Inner Loop Header: Depth=3
	v_lshl_add_u64 v[8:9], s[14:15], 0, v[2:3]
	global_load_ushort v7, v[8:9], off
	v_lshlrev_b32_e32 v6, 16, v6
	s_add_i32 s30, s30, -1
	v_lshl_add_u64 v[8:9], s[12:13], 0, v[2:3]
	v_lshl_add_u64 v[2:3], v[2:3], 0, s[18:19]
	s_cmp_eq_u32 s30, 0
	s_waitcnt vmcnt(0)
	v_lshlrev_b32_e32 v7, 16, v7
	v_add_f32_e32 v6, v7, v6
	v_bfe_u32 v7, v6, 16, 1
	v_add3_u32 v7, v6, v7, s28
	v_lshrrev_b32_e32 v7, 16, v7
	v_cmp_o_f32_e32 vcc, v6, v6
	s_nop 1
	v_cndmask_b32_e32 v6, v5, v7, vcc
	global_store_short v[8:9], v6, off
	s_cbranch_scc0 .LBB119_8
	s_branch .LBB119_5
.LBB119_9:
	s_endpgm
	.section	.rodata,"a",@progbits
	.p2align	6, 0x0
	.amdhsa_kernel _ZN2at6native28tensor_kernel_scan_outer_dimIN3c108BFloat16EjSt4plusIS3_EEEvPT_PKS6_jjjS6_T1_
		.amdhsa_group_segment_fixed_size 0
		.amdhsa_private_segment_fixed_size 0
		.amdhsa_kernarg_size 288
		.amdhsa_user_sgpr_count 2
		.amdhsa_user_sgpr_dispatch_ptr 0
		.amdhsa_user_sgpr_queue_ptr 0
		.amdhsa_user_sgpr_kernarg_segment_ptr 1
		.amdhsa_user_sgpr_dispatch_id 0
		.amdhsa_user_sgpr_kernarg_preload_length 0
		.amdhsa_user_sgpr_kernarg_preload_offset 0
		.amdhsa_user_sgpr_private_segment_size 0
		.amdhsa_uses_dynamic_stack 0
		.amdhsa_enable_private_segment 0
		.amdhsa_system_sgpr_workgroup_id_x 1
		.amdhsa_system_sgpr_workgroup_id_y 1
		.amdhsa_system_sgpr_workgroup_id_z 0
		.amdhsa_system_sgpr_workgroup_info 0
		.amdhsa_system_vgpr_workitem_id 0
		.amdhsa_next_free_vgpr 10
		.amdhsa_next_free_sgpr 31
		.amdhsa_accum_offset 12
		.amdhsa_reserve_vcc 1
		.amdhsa_float_round_mode_32 0
		.amdhsa_float_round_mode_16_64 0
		.amdhsa_float_denorm_mode_32 3
		.amdhsa_float_denorm_mode_16_64 3
		.amdhsa_dx10_clamp 1
		.amdhsa_ieee_mode 1
		.amdhsa_fp16_overflow 0
		.amdhsa_tg_split 0
		.amdhsa_exception_fp_ieee_invalid_op 0
		.amdhsa_exception_fp_denorm_src 0
		.amdhsa_exception_fp_ieee_div_zero 0
		.amdhsa_exception_fp_ieee_overflow 0
		.amdhsa_exception_fp_ieee_underflow 0
		.amdhsa_exception_fp_ieee_inexact 0
		.amdhsa_exception_int_div_zero 0
	.end_amdhsa_kernel
	.section	.text._ZN2at6native28tensor_kernel_scan_outer_dimIN3c108BFloat16EjSt4plusIS3_EEEvPT_PKS6_jjjS6_T1_,"axG",@progbits,_ZN2at6native28tensor_kernel_scan_outer_dimIN3c108BFloat16EjSt4plusIS3_EEEvPT_PKS6_jjjS6_T1_,comdat
.Lfunc_end119:
	.size	_ZN2at6native28tensor_kernel_scan_outer_dimIN3c108BFloat16EjSt4plusIS3_EEEvPT_PKS6_jjjS6_T1_, .Lfunc_end119-_ZN2at6native28tensor_kernel_scan_outer_dimIN3c108BFloat16EjSt4plusIS3_EEEvPT_PKS6_jjjS6_T1_
                                        ; -- End function
	.section	.AMDGPU.csdata,"",@progbits
; Kernel info:
; codeLenInByte = 368
; NumSgprs: 37
; NumVgprs: 10
; NumAgprs: 0
; TotalNumVgprs: 10
; ScratchSize: 0
; MemoryBound: 0
; FloatMode: 240
; IeeeMode: 1
; LDSByteSize: 0 bytes/workgroup (compile time only)
; SGPRBlocks: 4
; VGPRBlocks: 1
; NumSGPRsForWavesPerEU: 37
; NumVGPRsForWavesPerEU: 10
; AccumOffset: 12
; Occupancy: 8
; WaveLimiterHint : 0
; COMPUTE_PGM_RSRC2:SCRATCH_EN: 0
; COMPUTE_PGM_RSRC2:USER_SGPR: 2
; COMPUTE_PGM_RSRC2:TRAP_HANDLER: 0
; COMPUTE_PGM_RSRC2:TGID_X_EN: 1
; COMPUTE_PGM_RSRC2:TGID_Y_EN: 1
; COMPUTE_PGM_RSRC2:TGID_Z_EN: 0
; COMPUTE_PGM_RSRC2:TIDIG_COMP_CNT: 0
; COMPUTE_PGM_RSRC3_GFX90A:ACCUM_OFFSET: 2
; COMPUTE_PGM_RSRC3_GFX90A:TG_SPLIT: 0
	.section	.text._ZN2at6native28tensor_kernel_scan_outer_dimIN3c108BFloat16EmSt4plusIS3_EEEvPT_PKS6_jjjS6_T1_,"axG",@progbits,_ZN2at6native28tensor_kernel_scan_outer_dimIN3c108BFloat16EmSt4plusIS3_EEEvPT_PKS6_jjjS6_T1_,comdat
	.protected	_ZN2at6native28tensor_kernel_scan_outer_dimIN3c108BFloat16EmSt4plusIS3_EEEvPT_PKS6_jjjS6_T1_ ; -- Begin function _ZN2at6native28tensor_kernel_scan_outer_dimIN3c108BFloat16EmSt4plusIS3_EEEvPT_PKS6_jjjS6_T1_
	.globl	_ZN2at6native28tensor_kernel_scan_outer_dimIN3c108BFloat16EmSt4plusIS3_EEEvPT_PKS6_jjjS6_T1_
	.p2align	8
	.type	_ZN2at6native28tensor_kernel_scan_outer_dimIN3c108BFloat16EmSt4plusIS3_EEEvPT_PKS6_jjjS6_T1_,@function
_ZN2at6native28tensor_kernel_scan_outer_dimIN3c108BFloat16EmSt4plusIS3_EEEvPT_PKS6_jjjS6_T1_: ; @_ZN2at6native28tensor_kernel_scan_outer_dimIN3c108BFloat16EmSt4plusIS3_EEEvPT_PKS6_jjjS6_T1_
; %bb.0:
	s_load_dwordx4 s[8:11], s[0:1], 0x10
	s_waitcnt lgkmcnt(0)
	s_cmp_ge_u32 s2, s8
	s_cbranch_scc1 .LBB120_9
; %bb.1:
	s_load_dword s4, s[0:1], 0x2c
	s_load_dwordx4 s[12:15], s[0:1], 0x0
	s_load_dword s26, s[0:1], 0x20
	s_add_u32 s6, s0, 32
	s_addc_u32 s7, s1, 0
	s_waitcnt lgkmcnt(0)
	s_and_b32 s27, s4, 0xffff
	s_cmp_lg_u32 s10, 0
	s_mul_i32 s3, s3, s27
	s_cselect_b64 s[20:21], -1, 0
	v_add_u32_e32 v4, s3, v0
	s_mov_b32 s5, 0
	s_mov_b32 s4, s9
	s_mul_hi_u32 s17, s10, s9
	s_mul_i32 s16, s10, s9
	v_cndmask_b32_e64 v0, 0, 1, s[20:21]
	v_cmp_gt_u32_e64 s[0:1], s9, v4
	s_lshl_b64 s[16:17], s[16:17], 1
	s_lshl_b64 s[18:19], s[4:5], 1
	v_cmp_ne_u32_e64 s[4:5], 1, v0
	v_mov_b32_e32 v1, 0
	s_movk_i32 s3, 0x7fff
	v_mov_b32_e32 v5, 0x7fc0
	s_branch .LBB120_3
.LBB120_2:                              ;   in Loop: Header=BB120_3 Depth=1
	s_or_b64 exec, exec, s[20:21]
	s_add_i32 s2, s2, s26
	s_cmp_ge_u32 s2, s8
	s_cbranch_scc1 .LBB120_9
.LBB120_3:                              ; =>This Loop Header: Depth=1
                                        ;     Child Loop BB120_6 Depth 2
                                        ;       Child Loop BB120_8 Depth 3
	s_and_saveexec_b64 s[20:21], s[0:1]
	s_cbranch_execz .LBB120_2
; %bb.4:                                ;   in Loop: Header=BB120_3 Depth=1
	s_load_dword s28, s[6:7], 0x4
	s_mul_i32 s23, s17, s2
	s_mul_hi_u32 s24, s16, s2
	s_mul_i32 s22, s16, s2
	s_add_i32 s23, s24, s23
	s_waitcnt lgkmcnt(0)
	s_mul_i32 s28, s28, s27
	s_mov_b64 s[24:25], 0
	v_mov_b32_e32 v0, v4
	s_branch .LBB120_6
.LBB120_5:                              ;   in Loop: Header=BB120_6 Depth=2
	v_add_u32_e32 v0, s28, v0
	v_cmp_le_u32_e32 vcc, s9, v0
	s_or_b64 s[24:25], vcc, s[24:25]
	s_andn2_b64 exec, exec, s[24:25]
	s_cbranch_execz .LBB120_2
.LBB120_6:                              ;   Parent Loop BB120_3 Depth=1
                                        ; =>  This Loop Header: Depth=2
                                        ;       Child Loop BB120_8 Depth 3
	s_and_b64 vcc, exec, s[4:5]
	s_cbranch_vccnz .LBB120_5
; %bb.7:                                ;   in Loop: Header=BB120_6 Depth=2
	v_lshl_add_u64 v[2:3], v[0:1], 1, s[22:23]
	v_mov_b32_e32 v6, s11
	s_mov_b32 s29, s10
.LBB120_8:                              ;   Parent Loop BB120_3 Depth=1
                                        ;     Parent Loop BB120_6 Depth=2
                                        ; =>    This Inner Loop Header: Depth=3
	v_lshl_add_u64 v[8:9], s[14:15], 0, v[2:3]
	global_load_ushort v7, v[8:9], off
	v_lshlrev_b32_e32 v6, 16, v6
	s_add_i32 s29, s29, -1
	v_lshl_add_u64 v[8:9], s[12:13], 0, v[2:3]
	v_lshl_add_u64 v[2:3], v[2:3], 0, s[18:19]
	s_cmp_eq_u32 s29, 0
	s_waitcnt vmcnt(0)
	v_lshlrev_b32_e32 v7, 16, v7
	v_add_f32_e32 v6, v7, v6
	v_bfe_u32 v7, v6, 16, 1
	v_add3_u32 v7, v6, v7, s3
	v_lshrrev_b32_e32 v7, 16, v7
	v_cmp_o_f32_e32 vcc, v6, v6
	s_nop 1
	v_cndmask_b32_e32 v6, v5, v7, vcc
	global_store_short v[8:9], v6, off
	s_cbranch_scc0 .LBB120_8
	s_branch .LBB120_5
.LBB120_9:
	s_endpgm
	.section	.rodata,"a",@progbits
	.p2align	6, 0x0
	.amdhsa_kernel _ZN2at6native28tensor_kernel_scan_outer_dimIN3c108BFloat16EmSt4plusIS3_EEEvPT_PKS6_jjjS6_T1_
		.amdhsa_group_segment_fixed_size 0
		.amdhsa_private_segment_fixed_size 0
		.amdhsa_kernarg_size 288
		.amdhsa_user_sgpr_count 2
		.amdhsa_user_sgpr_dispatch_ptr 0
		.amdhsa_user_sgpr_queue_ptr 0
		.amdhsa_user_sgpr_kernarg_segment_ptr 1
		.amdhsa_user_sgpr_dispatch_id 0
		.amdhsa_user_sgpr_kernarg_preload_length 0
		.amdhsa_user_sgpr_kernarg_preload_offset 0
		.amdhsa_user_sgpr_private_segment_size 0
		.amdhsa_uses_dynamic_stack 0
		.amdhsa_enable_private_segment 0
		.amdhsa_system_sgpr_workgroup_id_x 1
		.amdhsa_system_sgpr_workgroup_id_y 1
		.amdhsa_system_sgpr_workgroup_id_z 0
		.amdhsa_system_sgpr_workgroup_info 0
		.amdhsa_system_vgpr_workitem_id 0
		.amdhsa_next_free_vgpr 10
		.amdhsa_next_free_sgpr 30
		.amdhsa_accum_offset 12
		.amdhsa_reserve_vcc 1
		.amdhsa_float_round_mode_32 0
		.amdhsa_float_round_mode_16_64 0
		.amdhsa_float_denorm_mode_32 3
		.amdhsa_float_denorm_mode_16_64 3
		.amdhsa_dx10_clamp 1
		.amdhsa_ieee_mode 1
		.amdhsa_fp16_overflow 0
		.amdhsa_tg_split 0
		.amdhsa_exception_fp_ieee_invalid_op 0
		.amdhsa_exception_fp_denorm_src 0
		.amdhsa_exception_fp_ieee_div_zero 0
		.amdhsa_exception_fp_ieee_overflow 0
		.amdhsa_exception_fp_ieee_underflow 0
		.amdhsa_exception_fp_ieee_inexact 0
		.amdhsa_exception_int_div_zero 0
	.end_amdhsa_kernel
	.section	.text._ZN2at6native28tensor_kernel_scan_outer_dimIN3c108BFloat16EmSt4plusIS3_EEEvPT_PKS6_jjjS6_T1_,"axG",@progbits,_ZN2at6native28tensor_kernel_scan_outer_dimIN3c108BFloat16EmSt4plusIS3_EEEvPT_PKS6_jjjS6_T1_,comdat
.Lfunc_end120:
	.size	_ZN2at6native28tensor_kernel_scan_outer_dimIN3c108BFloat16EmSt4plusIS3_EEEvPT_PKS6_jjjS6_T1_, .Lfunc_end120-_ZN2at6native28tensor_kernel_scan_outer_dimIN3c108BFloat16EmSt4plusIS3_EEEvPT_PKS6_jjjS6_T1_
                                        ; -- End function
	.section	.AMDGPU.csdata,"",@progbits
; Kernel info:
; codeLenInByte = 368
; NumSgprs: 36
; NumVgprs: 10
; NumAgprs: 0
; TotalNumVgprs: 10
; ScratchSize: 0
; MemoryBound: 0
; FloatMode: 240
; IeeeMode: 1
; LDSByteSize: 0 bytes/workgroup (compile time only)
; SGPRBlocks: 4
; VGPRBlocks: 1
; NumSGPRsForWavesPerEU: 36
; NumVGPRsForWavesPerEU: 10
; AccumOffset: 12
; Occupancy: 8
; WaveLimiterHint : 0
; COMPUTE_PGM_RSRC2:SCRATCH_EN: 0
; COMPUTE_PGM_RSRC2:USER_SGPR: 2
; COMPUTE_PGM_RSRC2:TRAP_HANDLER: 0
; COMPUTE_PGM_RSRC2:TGID_X_EN: 1
; COMPUTE_PGM_RSRC2:TGID_Y_EN: 1
; COMPUTE_PGM_RSRC2:TGID_Z_EN: 0
; COMPUTE_PGM_RSRC2:TIDIG_COMP_CNT: 0
; COMPUTE_PGM_RSRC3_GFX90A:ACCUM_OFFSET: 2
; COMPUTE_PGM_RSRC3_GFX90A:TG_SPLIT: 0
	.text
	.p2alignl 6, 3212836864
	.fill 256, 4, 3212836864
	.type	__hip_cuid_89b3caf60b0ff5bb,@object ; @__hip_cuid_89b3caf60b0ff5bb
	.section	.bss,"aw",@nobits
	.globl	__hip_cuid_89b3caf60b0ff5bb
__hip_cuid_89b3caf60b0ff5bb:
	.byte	0                               ; 0x0
	.size	__hip_cuid_89b3caf60b0ff5bb, 1

	.ident	"AMD clang version 19.0.0git (https://github.com/RadeonOpenCompute/llvm-project roc-6.4.0 25133 c7fe45cf4b819c5991fe208aaa96edf142730f1d)"
	.section	".note.GNU-stack","",@progbits
	.addrsig
	.addrsig_sym __hip_cuid_89b3caf60b0ff5bb
	.amdgpu_metadata
---
amdhsa.kernels:
  - .agpr_count:     0
    .args:
      - .address_space:  global
        .offset:         0
        .size:           8
        .value_kind:     global_buffer
      - .address_space:  global
        .offset:         8
        .size:           8
        .value_kind:     global_buffer
      - .offset:         16
        .size:           8
        .value_kind:     by_value
      - .offset:         24
        .size:           4
        .value_kind:     by_value
    .group_segment_fixed_size: 8
    .kernarg_segment_align: 8
    .kernarg_segment_size: 28
    .language:       OpenCL C
    .language_version:
      - 2
      - 0
    .max_flat_workgroup_size: 1024
    .name:           _ZN2at4cuda3cub15calc_block_sumsILi512ELi16ELb0EhhEEvPKT2_PT3_li
    .private_segment_fixed_size: 0
    .sgpr_count:     28
    .sgpr_spill_count: 0
    .symbol:         _ZN2at4cuda3cub15calc_block_sumsILi512ELi16ELb0EhhEEvPKT2_PT3_li.kd
    .uniform_work_group_size: 1
    .uses_dynamic_stack: false
    .vgpr_count:     42
    .vgpr_spill_count: 0
    .wavefront_size: 64
  - .agpr_count:     0
    .args:
      - .address_space:  global
        .offset:         0
        .size:           8
        .value_kind:     global_buffer
      - .address_space:  global
        .offset:         8
        .size:           8
        .value_kind:     global_buffer
      - .address_space:  global
        .offset:         16
        .size:           8
        .value_kind:     global_buffer
      - .offset:         24
        .size:           8
        .value_kind:     by_value
      - .offset:         32
        .size:           4
        .value_kind:     by_value
      - .offset:         40
        .size:           4
        .value_kind:     hidden_block_count_x
      - .offset:         44
        .size:           4
        .value_kind:     hidden_block_count_y
      - .offset:         48
        .size:           4
        .value_kind:     hidden_block_count_z
      - .offset:         52
        .size:           2
        .value_kind:     hidden_group_size_x
      - .offset:         54
        .size:           2
        .value_kind:     hidden_group_size_y
      - .offset:         56
        .size:           2
        .value_kind:     hidden_group_size_z
      - .offset:         58
        .size:           2
        .value_kind:     hidden_remainder_x
      - .offset:         60
        .size:           2
        .value_kind:     hidden_remainder_y
      - .offset:         62
        .size:           2
        .value_kind:     hidden_remainder_z
      - .offset:         80
        .size:           8
        .value_kind:     hidden_global_offset_x
      - .offset:         88
        .size:           8
        .value_kind:     hidden_global_offset_y
      - .offset:         96
        .size:           8
        .value_kind:     hidden_global_offset_z
      - .offset:         104
        .size:           2
        .value_kind:     hidden_grid_dims
    .group_segment_fixed_size: 8448
    .kernarg_segment_align: 8
    .kernarg_segment_size: 296
    .language:       OpenCL C
    .language_version:
      - 2
      - 0
    .max_flat_workgroup_size: 1024
    .name:           _ZN2at4cuda3cub17final_scan_kernelILi512ELi16EhEEvPKT1_PS3_S6_li
    .private_segment_fixed_size: 0
    .sgpr_count:     55
    .sgpr_spill_count: 0
    .symbol:         _ZN2at4cuda3cub17final_scan_kernelILi512ELi16EhEEvPKT1_PS3_S6_li.kd
    .uniform_work_group_size: 1
    .uses_dynamic_stack: false
    .vgpr_count:     83
    .vgpr_spill_count: 0
    .wavefront_size: 64
  - .agpr_count:     0
    .args:
      - .address_space:  global
        .offset:         0
        .size:           8
        .value_kind:     global_buffer
      - .offset:         8
        .size:           4
        .value_kind:     by_value
      - .offset:         12
        .size:           4
        .value_kind:     by_value
      - .address_space:  global
        .offset:         16
        .size:           8
        .value_kind:     global_buffer
      - .offset:         24
        .size:           4
        .value_kind:     hidden_block_count_x
      - .offset:         28
        .size:           4
        .value_kind:     hidden_block_count_y
      - .offset:         32
        .size:           4
        .value_kind:     hidden_block_count_z
      - .offset:         36
        .size:           2
        .value_kind:     hidden_group_size_x
      - .offset:         38
        .size:           2
        .value_kind:     hidden_group_size_y
      - .offset:         40
        .size:           2
        .value_kind:     hidden_group_size_z
      - .offset:         42
        .size:           2
        .value_kind:     hidden_remainder_x
      - .offset:         44
        .size:           2
        .value_kind:     hidden_remainder_y
      - .offset:         46
        .size:           2
        .value_kind:     hidden_remainder_z
      - .offset:         64
        .size:           8
        .value_kind:     hidden_global_offset_x
      - .offset:         72
        .size:           8
        .value_kind:     hidden_global_offset_y
      - .offset:         80
        .size:           8
        .value_kind:     hidden_global_offset_z
      - .offset:         88
        .size:           2
        .value_kind:     hidden_grid_dims
    .group_segment_fixed_size: 0
    .kernarg_segment_align: 8
    .kernarg_segment_size: 280
    .language:       OpenCL C
    .language_version:
      - 2
      - 0
    .max_flat_workgroup_size: 256
    .name:           _ZN7rocprim17ROCPRIM_304000_NS6detail31init_lookback_scan_state_kernelINS1_19lookback_scan_stateIhLb1ELb1EEEEEvT_jjPNS5_10value_typeE
    .private_segment_fixed_size: 0
    .sgpr_count:     20
    .sgpr_spill_count: 0
    .symbol:         _ZN7rocprim17ROCPRIM_304000_NS6detail31init_lookback_scan_state_kernelINS1_19lookback_scan_stateIhLb1ELb1EEEEEvT_jjPNS5_10value_typeE.kd
    .uniform_work_group_size: 1
    .uses_dynamic_stack: false
    .vgpr_count:     6
    .vgpr_spill_count: 0
    .wavefront_size: 64
  - .agpr_count:     0
    .args:
      - .address_space:  global
        .offset:         0
        .size:           8
        .value_kind:     global_buffer
      - .offset:         8
        .size:           4
        .value_kind:     by_value
      - .offset:         12
        .size:           4
        .value_kind:     by_value
      - .address_space:  global
        .offset:         16
        .size:           8
        .value_kind:     global_buffer
      - .offset:         24
        .size:           4
        .value_kind:     hidden_block_count_x
      - .offset:         28
        .size:           4
        .value_kind:     hidden_block_count_y
      - .offset:         32
        .size:           4
        .value_kind:     hidden_block_count_z
      - .offset:         36
        .size:           2
        .value_kind:     hidden_group_size_x
      - .offset:         38
        .size:           2
        .value_kind:     hidden_group_size_y
      - .offset:         40
        .size:           2
        .value_kind:     hidden_group_size_z
      - .offset:         42
        .size:           2
        .value_kind:     hidden_remainder_x
      - .offset:         44
        .size:           2
        .value_kind:     hidden_remainder_y
      - .offset:         46
        .size:           2
        .value_kind:     hidden_remainder_z
      - .offset:         64
        .size:           8
        .value_kind:     hidden_global_offset_x
      - .offset:         72
        .size:           8
        .value_kind:     hidden_global_offset_y
      - .offset:         80
        .size:           8
        .value_kind:     hidden_global_offset_z
      - .offset:         88
        .size:           2
        .value_kind:     hidden_grid_dims
    .group_segment_fixed_size: 0
    .kernarg_segment_align: 8
    .kernarg_segment_size: 280
    .language:       OpenCL C
    .language_version:
      - 2
      - 0
    .max_flat_workgroup_size: 256
    .name:           _ZN7rocprim17ROCPRIM_304000_NS6detail31init_lookback_scan_state_kernelINS1_19lookback_scan_stateIhLb0ELb1EEEEEvT_jjPNS5_10value_typeE
    .private_segment_fixed_size: 0
    .sgpr_count:     16
    .sgpr_spill_count: 0
    .symbol:         _ZN7rocprim17ROCPRIM_304000_NS6detail31init_lookback_scan_state_kernelINS1_19lookback_scan_stateIhLb0ELb1EEEEEvT_jjPNS5_10value_typeE.kd
    .uniform_work_group_size: 1
    .uses_dynamic_stack: false
    .vgpr_count:     6
    .vgpr_spill_count: 0
    .wavefront_size: 64
  - .agpr_count:     0
    .args:
      - .address_space:  global
        .offset:         0
        .size:           8
        .value_kind:     global_buffer
      - .address_space:  global
        .offset:         8
        .size:           8
        .value_kind:     global_buffer
      - .offset:         16
        .size:           8
        .value_kind:     by_value
      - .offset:         24
        .size:           1
        .value_kind:     by_value
      - .offset:         25
        .size:           1
        .value_kind:     by_value
      - .address_space:  global
        .offset:         32
        .size:           8
        .value_kind:     global_buffer
      - .offset:         40
        .size:           4
        .value_kind:     by_value
      - .address_space:  global
        .offset:         48
        .size:           8
        .value_kind:     global_buffer
      - .address_space:  global
        .offset:         56
        .size:           8
        .value_kind:     global_buffer
      - .offset:         64
        .size:           1
        .value_kind:     by_value
      - .offset:         65
        .size:           1
        .value_kind:     by_value
    .group_segment_fixed_size: 0
    .kernarg_segment_align: 8
    .kernarg_segment_size: 68
    .language:       OpenCL C
    .language_version:
      - 2
      - 0
    .max_flat_workgroup_size: 256
    .name:           _ZN7rocprim17ROCPRIM_304000_NS6detail20lookback_scan_kernelILNS1_25lookback_scan_determinismE0ELb0ENS1_19wrapped_scan_configINS0_14default_configEhEEPKhPhSt4plusIhEhhNS1_19lookback_scan_stateIhLb1ELb1EEEEEvT2_T3_mT5_T4_T7_jPT6_SK_bb
    .private_segment_fixed_size: 0
    .sgpr_count:     6
    .sgpr_spill_count: 0
    .symbol:         _ZN7rocprim17ROCPRIM_304000_NS6detail20lookback_scan_kernelILNS1_25lookback_scan_determinismE0ELb0ENS1_19wrapped_scan_configINS0_14default_configEhEEPKhPhSt4plusIhEhhNS1_19lookback_scan_stateIhLb1ELb1EEEEEvT2_T3_mT5_T4_T7_jPT6_SK_bb.kd
    .uniform_work_group_size: 1
    .uses_dynamic_stack: false
    .vgpr_count:     0
    .vgpr_spill_count: 0
    .wavefront_size: 64
  - .agpr_count:     0
    .args:
      - .address_space:  global
        .offset:         0
        .size:           8
        .value_kind:     global_buffer
      - .address_space:  global
        .offset:         8
        .size:           8
        .value_kind:     global_buffer
      - .offset:         16
        .size:           8
        .value_kind:     by_value
      - .offset:         24
        .size:           1
        .value_kind:     by_value
      - .offset:         25
        .size:           1
        .value_kind:     by_value
      - .address_space:  global
        .offset:         32
        .size:           8
        .value_kind:     global_buffer
      - .offset:         40
        .size:           4
        .value_kind:     by_value
      - .address_space:  global
        .offset:         48
        .size:           8
        .value_kind:     global_buffer
      - .address_space:  global
        .offset:         56
        .size:           8
        .value_kind:     global_buffer
      - .offset:         64
        .size:           1
        .value_kind:     by_value
      - .offset:         65
        .size:           1
        .value_kind:     by_value
    .group_segment_fixed_size: 6144
    .kernarg_segment_align: 8
    .kernarg_segment_size: 68
    .language:       OpenCL C
    .language_version:
      - 2
      - 0
    .max_flat_workgroup_size: 256
    .name:           _ZN7rocprim17ROCPRIM_304000_NS6detail20lookback_scan_kernelILNS1_25lookback_scan_determinismE0ELb0ENS1_19wrapped_scan_configINS0_14default_configEhEEPKhPhSt4plusIhEhhNS1_19lookback_scan_stateIhLb0ELb1EEEEEvT2_T3_mT5_T4_T7_jPT6_SK_bb
    .private_segment_fixed_size: 0
    .sgpr_count:     32
    .sgpr_spill_count: 0
    .symbol:         _ZN7rocprim17ROCPRIM_304000_NS6detail20lookback_scan_kernelILNS1_25lookback_scan_determinismE0ELb0ENS1_19wrapped_scan_configINS0_14default_configEhEEPKhPhSt4plusIhEhhNS1_19lookback_scan_stateIhLb0ELb1EEEEEvT2_T3_mT5_T4_T7_jPT6_SK_bb.kd
    .uniform_work_group_size: 1
    .uses_dynamic_stack: false
    .vgpr_count:     53
    .vgpr_spill_count: 0
    .wavefront_size: 64
  - .agpr_count:     0
    .args:
      - .address_space:  global
        .offset:         0
        .size:           8
        .value_kind:     global_buffer
      - .offset:         8
        .size:           8
        .value_kind:     by_value
      - .address_space:  global
        .offset:         16
        .size:           8
        .value_kind:     global_buffer
      - .offset:         24
        .size:           1
        .value_kind:     by_value
      - .offset:         32
        .size:           4
        .value_kind:     hidden_block_count_x
      - .offset:         36
        .size:           4
        .value_kind:     hidden_block_count_y
      - .offset:         40
        .size:           4
        .value_kind:     hidden_block_count_z
      - .offset:         44
        .size:           2
        .value_kind:     hidden_group_size_x
      - .offset:         46
        .size:           2
        .value_kind:     hidden_group_size_y
      - .offset:         48
        .size:           2
        .value_kind:     hidden_group_size_z
      - .offset:         50
        .size:           2
        .value_kind:     hidden_remainder_x
      - .offset:         52
        .size:           2
        .value_kind:     hidden_remainder_y
      - .offset:         54
        .size:           2
        .value_kind:     hidden_remainder_z
      - .offset:         72
        .size:           8
        .value_kind:     hidden_global_offset_x
      - .offset:         80
        .size:           8
        .value_kind:     hidden_global_offset_y
      - .offset:         88
        .size:           8
        .value_kind:     hidden_global_offset_z
      - .offset:         96
        .size:           2
        .value_kind:     hidden_grid_dims
    .group_segment_fixed_size: 0
    .kernarg_segment_align: 8
    .kernarg_segment_size: 288
    .language:       OpenCL C
    .language_version:
      - 2
      - 0
    .max_flat_workgroup_size: 256
    .name:           _ZN7rocprim17ROCPRIM_304000_NS6detail16transform_kernelINS1_24wrapped_transform_configINS0_14default_configEhEEhPhS6_NS0_8identityIhEEEEvT1_mT2_T3_
    .private_segment_fixed_size: 0
    .sgpr_count:     44
    .sgpr_spill_count: 0
    .symbol:         _ZN7rocprim17ROCPRIM_304000_NS6detail16transform_kernelINS1_24wrapped_transform_configINS0_14default_configEhEEhPhS6_NS0_8identityIhEEEEvT1_mT2_T3_.kd
    .uniform_work_group_size: 1
    .uses_dynamic_stack: false
    .vgpr_count:     22
    .vgpr_spill_count: 0
    .wavefront_size: 64
  - .agpr_count:     0
    .args:
      - .address_space:  global
        .offset:         0
        .size:           8
        .value_kind:     global_buffer
      - .offset:         8
        .size:           8
        .value_kind:     by_value
      - .offset:         16
        .size:           1
        .value_kind:     by_value
      - .address_space:  global
        .offset:         24
        .size:           8
        .value_kind:     global_buffer
      - .offset:         32
        .size:           1
        .value_kind:     by_value
    .group_segment_fixed_size: 6144
    .kernarg_segment_align: 8
    .kernarg_segment_size: 36
    .language:       OpenCL C
    .language_version:
      - 2
      - 0
    .max_flat_workgroup_size: 256
    .name:           _ZN7rocprim17ROCPRIM_304000_NS6detail18single_scan_kernelILb0ENS1_19wrapped_scan_configINS0_14default_configEhEEPKhPhSt4plusIhEhhEEvT1_mT4_T2_T3_
    .private_segment_fixed_size: 0
    .sgpr_count:     60
    .sgpr_spill_count: 0
    .symbol:         _ZN7rocprim17ROCPRIM_304000_NS6detail18single_scan_kernelILb0ENS1_19wrapped_scan_configINS0_14default_configEhEEPKhPhSt4plusIhEhhEEvT1_mT4_T2_T3_.kd
    .uniform_work_group_size: 1
    .uses_dynamic_stack: false
    .vgpr_count:     30
    .vgpr_spill_count: 0
    .wavefront_size: 64
  - .agpr_count:     0
    .args:
      - .address_space:  global
        .offset:         0
        .size:           8
        .value_kind:     global_buffer
      - .address_space:  global
        .offset:         8
        .size:           8
        .value_kind:     global_buffer
      - .offset:         16
        .size:           4
        .value_kind:     by_value
      - .offset:         20
        .size:           4
        .value_kind:     by_value
      - .offset:         24
        .size:           4
        .value_kind:     by_value
      - .offset:         28
        .size:           1
        .value_kind:     by_value
      - .offset:         29
        .size:           1
        .value_kind:     by_value
      - .offset:         32
        .size:           4
        .value_kind:     hidden_block_count_x
      - .offset:         36
        .size:           4
        .value_kind:     hidden_block_count_y
      - .offset:         40
        .size:           4
        .value_kind:     hidden_block_count_z
      - .offset:         44
        .size:           2
        .value_kind:     hidden_group_size_x
      - .offset:         46
        .size:           2
        .value_kind:     hidden_group_size_y
      - .offset:         48
        .size:           2
        .value_kind:     hidden_group_size_z
      - .offset:         50
        .size:           2
        .value_kind:     hidden_remainder_x
      - .offset:         52
        .size:           2
        .value_kind:     hidden_remainder_y
      - .offset:         54
        .size:           2
        .value_kind:     hidden_remainder_z
      - .offset:         72
        .size:           8
        .value_kind:     hidden_global_offset_x
      - .offset:         80
        .size:           8
        .value_kind:     hidden_global_offset_y
      - .offset:         88
        .size:           8
        .value_kind:     hidden_global_offset_z
      - .offset:         96
        .size:           2
        .value_kind:     hidden_grid_dims
      - .offset:         152
        .size:           4
        .value_kind:     hidden_dynamic_lds_size
    .group_segment_fixed_size: 0
    .kernarg_segment_align: 8
    .kernarg_segment_size: 288
    .language:       OpenCL C
    .language_version:
      - 2
      - 0
    .max_flat_workgroup_size: 1024
    .name:           _ZN2at6native32tensor_kernel_scan_innermost_dimIhSt4plusIhEEEvPT_PKS4_jjjS4_T0_
    .private_segment_fixed_size: 0
    .sgpr_count:     40
    .sgpr_spill_count: 0
    .symbol:         _ZN2at6native32tensor_kernel_scan_innermost_dimIhSt4plusIhEEEvPT_PKS4_jjjS4_T0_.kd
    .uniform_work_group_size: 1
    .uses_dynamic_stack: false
    .vgpr_count:     26
    .vgpr_spill_count: 0
    .wavefront_size: 64
  - .agpr_count:     0
    .args:
      - .address_space:  global
        .offset:         0
        .size:           8
        .value_kind:     global_buffer
      - .address_space:  global
        .offset:         8
        .size:           8
        .value_kind:     global_buffer
      - .offset:         16
        .size:           4
        .value_kind:     by_value
      - .offset:         20
        .size:           4
        .value_kind:     by_value
      - .offset:         24
        .size:           4
        .value_kind:     by_value
      - .offset:         28
        .size:           1
        .value_kind:     by_value
      - .offset:         29
        .size:           1
        .value_kind:     by_value
      - .offset:         32
        .size:           4
        .value_kind:     hidden_block_count_x
      - .offset:         36
        .size:           4
        .value_kind:     hidden_block_count_y
      - .offset:         40
        .size:           4
        .value_kind:     hidden_block_count_z
      - .offset:         44
        .size:           2
        .value_kind:     hidden_group_size_x
      - .offset:         46
        .size:           2
        .value_kind:     hidden_group_size_y
      - .offset:         48
        .size:           2
        .value_kind:     hidden_group_size_z
      - .offset:         50
        .size:           2
        .value_kind:     hidden_remainder_x
      - .offset:         52
        .size:           2
        .value_kind:     hidden_remainder_y
      - .offset:         54
        .size:           2
        .value_kind:     hidden_remainder_z
      - .offset:         72
        .size:           8
        .value_kind:     hidden_global_offset_x
      - .offset:         80
        .size:           8
        .value_kind:     hidden_global_offset_y
      - .offset:         88
        .size:           8
        .value_kind:     hidden_global_offset_z
      - .offset:         96
        .size:           2
        .value_kind:     hidden_grid_dims
    .group_segment_fixed_size: 0
    .kernarg_segment_align: 8
    .kernarg_segment_size: 288
    .language:       OpenCL C
    .language_version:
      - 2
      - 0
    .max_flat_workgroup_size: 1024
    .name:           _ZN2at6native28tensor_kernel_scan_outer_dimIhjSt4plusIhEEEvPT_PKS4_jjjS4_T1_
    .private_segment_fixed_size: 0
    .sgpr_count:     34
    .sgpr_spill_count: 0
    .symbol:         _ZN2at6native28tensor_kernel_scan_outer_dimIhjSt4plusIhEEEvPT_PKS4_jjjS4_T1_.kd
    .uniform_work_group_size: 1
    .uses_dynamic_stack: false
    .vgpr_count:     9
    .vgpr_spill_count: 0
    .wavefront_size: 64
  - .agpr_count:     0
    .args:
      - .address_space:  global
        .offset:         0
        .size:           8
        .value_kind:     global_buffer
      - .address_space:  global
        .offset:         8
        .size:           8
        .value_kind:     global_buffer
      - .offset:         16
        .size:           4
        .value_kind:     by_value
      - .offset:         20
        .size:           4
        .value_kind:     by_value
      - .offset:         24
        .size:           4
        .value_kind:     by_value
      - .offset:         28
        .size:           1
        .value_kind:     by_value
      - .offset:         29
        .size:           1
        .value_kind:     by_value
      - .offset:         32
        .size:           4
        .value_kind:     hidden_block_count_x
      - .offset:         36
        .size:           4
        .value_kind:     hidden_block_count_y
      - .offset:         40
        .size:           4
        .value_kind:     hidden_block_count_z
      - .offset:         44
        .size:           2
        .value_kind:     hidden_group_size_x
      - .offset:         46
        .size:           2
        .value_kind:     hidden_group_size_y
      - .offset:         48
        .size:           2
        .value_kind:     hidden_group_size_z
      - .offset:         50
        .size:           2
        .value_kind:     hidden_remainder_x
      - .offset:         52
        .size:           2
        .value_kind:     hidden_remainder_y
      - .offset:         54
        .size:           2
        .value_kind:     hidden_remainder_z
      - .offset:         72
        .size:           8
        .value_kind:     hidden_global_offset_x
      - .offset:         80
        .size:           8
        .value_kind:     hidden_global_offset_y
      - .offset:         88
        .size:           8
        .value_kind:     hidden_global_offset_z
      - .offset:         96
        .size:           2
        .value_kind:     hidden_grid_dims
    .group_segment_fixed_size: 0
    .kernarg_segment_align: 8
    .kernarg_segment_size: 288
    .language:       OpenCL C
    .language_version:
      - 2
      - 0
    .max_flat_workgroup_size: 1024
    .name:           _ZN2at6native28tensor_kernel_scan_outer_dimIhmSt4plusIhEEEvPT_PKS4_jjjS4_T1_
    .private_segment_fixed_size: 0
    .sgpr_count:     35
    .sgpr_spill_count: 0
    .symbol:         _ZN2at6native28tensor_kernel_scan_outer_dimIhmSt4plusIhEEEvPT_PKS4_jjjS4_T1_.kd
    .uniform_work_group_size: 1
    .uses_dynamic_stack: false
    .vgpr_count:     9
    .vgpr_spill_count: 0
    .wavefront_size: 64
  - .agpr_count:     0
    .args:
      - .address_space:  global
        .offset:         0
        .size:           8
        .value_kind:     global_buffer
      - .address_space:  global
        .offset:         8
        .size:           8
        .value_kind:     global_buffer
      - .offset:         16
        .size:           8
        .value_kind:     by_value
      - .offset:         24
        .size:           4
        .value_kind:     by_value
    .group_segment_fixed_size: 8
    .kernarg_segment_align: 8
    .kernarg_segment_size: 28
    .language:       OpenCL C
    .language_version:
      - 2
      - 0
    .max_flat_workgroup_size: 1024
    .name:           _ZN2at4cuda3cub15calc_block_sumsILi512ELi16ELb0EaaEEvPKT2_PT3_li
    .private_segment_fixed_size: 0
    .sgpr_count:     28
    .sgpr_spill_count: 0
    .symbol:         _ZN2at4cuda3cub15calc_block_sumsILi512ELi16ELb0EaaEEvPKT2_PT3_li.kd
    .uniform_work_group_size: 1
    .uses_dynamic_stack: false
    .vgpr_count:     42
    .vgpr_spill_count: 0
    .wavefront_size: 64
  - .agpr_count:     0
    .args:
      - .address_space:  global
        .offset:         0
        .size:           8
        .value_kind:     global_buffer
      - .address_space:  global
        .offset:         8
        .size:           8
        .value_kind:     global_buffer
      - .address_space:  global
        .offset:         16
        .size:           8
        .value_kind:     global_buffer
      - .offset:         24
        .size:           8
        .value_kind:     by_value
      - .offset:         32
        .size:           4
        .value_kind:     by_value
      - .offset:         40
        .size:           4
        .value_kind:     hidden_block_count_x
      - .offset:         44
        .size:           4
        .value_kind:     hidden_block_count_y
      - .offset:         48
        .size:           4
        .value_kind:     hidden_block_count_z
      - .offset:         52
        .size:           2
        .value_kind:     hidden_group_size_x
      - .offset:         54
        .size:           2
        .value_kind:     hidden_group_size_y
      - .offset:         56
        .size:           2
        .value_kind:     hidden_group_size_z
      - .offset:         58
        .size:           2
        .value_kind:     hidden_remainder_x
      - .offset:         60
        .size:           2
        .value_kind:     hidden_remainder_y
      - .offset:         62
        .size:           2
        .value_kind:     hidden_remainder_z
      - .offset:         80
        .size:           8
        .value_kind:     hidden_global_offset_x
      - .offset:         88
        .size:           8
        .value_kind:     hidden_global_offset_y
      - .offset:         96
        .size:           8
        .value_kind:     hidden_global_offset_z
      - .offset:         104
        .size:           2
        .value_kind:     hidden_grid_dims
    .group_segment_fixed_size: 8448
    .kernarg_segment_align: 8
    .kernarg_segment_size: 296
    .language:       OpenCL C
    .language_version:
      - 2
      - 0
    .max_flat_workgroup_size: 1024
    .name:           _ZN2at4cuda3cub17final_scan_kernelILi512ELi16EaEEvPKT1_PS3_S6_li
    .private_segment_fixed_size: 0
    .sgpr_count:     55
    .sgpr_spill_count: 0
    .symbol:         _ZN2at4cuda3cub17final_scan_kernelILi512ELi16EaEEvPKT1_PS3_S6_li.kd
    .uniform_work_group_size: 1
    .uses_dynamic_stack: false
    .vgpr_count:     83
    .vgpr_spill_count: 0
    .wavefront_size: 64
  - .agpr_count:     0
    .args:
      - .address_space:  global
        .offset:         0
        .size:           8
        .value_kind:     global_buffer
      - .offset:         8
        .size:           4
        .value_kind:     by_value
      - .offset:         12
        .size:           4
        .value_kind:     by_value
      - .address_space:  global
        .offset:         16
        .size:           8
        .value_kind:     global_buffer
      - .offset:         24
        .size:           4
        .value_kind:     hidden_block_count_x
      - .offset:         28
        .size:           4
        .value_kind:     hidden_block_count_y
      - .offset:         32
        .size:           4
        .value_kind:     hidden_block_count_z
      - .offset:         36
        .size:           2
        .value_kind:     hidden_group_size_x
      - .offset:         38
        .size:           2
        .value_kind:     hidden_group_size_y
      - .offset:         40
        .size:           2
        .value_kind:     hidden_group_size_z
      - .offset:         42
        .size:           2
        .value_kind:     hidden_remainder_x
      - .offset:         44
        .size:           2
        .value_kind:     hidden_remainder_y
      - .offset:         46
        .size:           2
        .value_kind:     hidden_remainder_z
      - .offset:         64
        .size:           8
        .value_kind:     hidden_global_offset_x
      - .offset:         72
        .size:           8
        .value_kind:     hidden_global_offset_y
      - .offset:         80
        .size:           8
        .value_kind:     hidden_global_offset_z
      - .offset:         88
        .size:           2
        .value_kind:     hidden_grid_dims
    .group_segment_fixed_size: 0
    .kernarg_segment_align: 8
    .kernarg_segment_size: 280
    .language:       OpenCL C
    .language_version:
      - 2
      - 0
    .max_flat_workgroup_size: 256
    .name:           _ZN7rocprim17ROCPRIM_304000_NS6detail31init_lookback_scan_state_kernelINS1_19lookback_scan_stateIaLb1ELb1EEEEEvT_jjPNS5_10value_typeE
    .private_segment_fixed_size: 0
    .sgpr_count:     20
    .sgpr_spill_count: 0
    .symbol:         _ZN7rocprim17ROCPRIM_304000_NS6detail31init_lookback_scan_state_kernelINS1_19lookback_scan_stateIaLb1ELb1EEEEEvT_jjPNS5_10value_typeE.kd
    .uniform_work_group_size: 1
    .uses_dynamic_stack: false
    .vgpr_count:     6
    .vgpr_spill_count: 0
    .wavefront_size: 64
  - .agpr_count:     0
    .args:
      - .address_space:  global
        .offset:         0
        .size:           8
        .value_kind:     global_buffer
      - .offset:         8
        .size:           4
        .value_kind:     by_value
      - .offset:         12
        .size:           4
        .value_kind:     by_value
      - .address_space:  global
        .offset:         16
        .size:           8
        .value_kind:     global_buffer
      - .offset:         24
        .size:           4
        .value_kind:     hidden_block_count_x
      - .offset:         28
        .size:           4
        .value_kind:     hidden_block_count_y
      - .offset:         32
        .size:           4
        .value_kind:     hidden_block_count_z
      - .offset:         36
        .size:           2
        .value_kind:     hidden_group_size_x
      - .offset:         38
        .size:           2
        .value_kind:     hidden_group_size_y
      - .offset:         40
        .size:           2
        .value_kind:     hidden_group_size_z
      - .offset:         42
        .size:           2
        .value_kind:     hidden_remainder_x
      - .offset:         44
        .size:           2
        .value_kind:     hidden_remainder_y
      - .offset:         46
        .size:           2
        .value_kind:     hidden_remainder_z
      - .offset:         64
        .size:           8
        .value_kind:     hidden_global_offset_x
      - .offset:         72
        .size:           8
        .value_kind:     hidden_global_offset_y
      - .offset:         80
        .size:           8
        .value_kind:     hidden_global_offset_z
      - .offset:         88
        .size:           2
        .value_kind:     hidden_grid_dims
    .group_segment_fixed_size: 0
    .kernarg_segment_align: 8
    .kernarg_segment_size: 280
    .language:       OpenCL C
    .language_version:
      - 2
      - 0
    .max_flat_workgroup_size: 256
    .name:           _ZN7rocprim17ROCPRIM_304000_NS6detail31init_lookback_scan_state_kernelINS1_19lookback_scan_stateIaLb0ELb1EEEEEvT_jjPNS5_10value_typeE
    .private_segment_fixed_size: 0
    .sgpr_count:     16
    .sgpr_spill_count: 0
    .symbol:         _ZN7rocprim17ROCPRIM_304000_NS6detail31init_lookback_scan_state_kernelINS1_19lookback_scan_stateIaLb0ELb1EEEEEvT_jjPNS5_10value_typeE.kd
    .uniform_work_group_size: 1
    .uses_dynamic_stack: false
    .vgpr_count:     6
    .vgpr_spill_count: 0
    .wavefront_size: 64
  - .agpr_count:     0
    .args:
      - .address_space:  global
        .offset:         0
        .size:           8
        .value_kind:     global_buffer
      - .address_space:  global
        .offset:         8
        .size:           8
        .value_kind:     global_buffer
      - .offset:         16
        .size:           8
        .value_kind:     by_value
      - .offset:         24
        .size:           1
        .value_kind:     by_value
      - .offset:         25
        .size:           1
        .value_kind:     by_value
      - .address_space:  global
        .offset:         32
        .size:           8
        .value_kind:     global_buffer
      - .offset:         40
        .size:           4
        .value_kind:     by_value
      - .address_space:  global
        .offset:         48
        .size:           8
        .value_kind:     global_buffer
      - .address_space:  global
        .offset:         56
        .size:           8
        .value_kind:     global_buffer
      - .offset:         64
        .size:           1
        .value_kind:     by_value
      - .offset:         65
        .size:           1
        .value_kind:     by_value
    .group_segment_fixed_size: 0
    .kernarg_segment_align: 8
    .kernarg_segment_size: 68
    .language:       OpenCL C
    .language_version:
      - 2
      - 0
    .max_flat_workgroup_size: 256
    .name:           _ZN7rocprim17ROCPRIM_304000_NS6detail20lookback_scan_kernelILNS1_25lookback_scan_determinismE0ELb0ENS1_19wrapped_scan_configINS0_14default_configEaEEPKaPaSt4plusIaEaaNS1_19lookback_scan_stateIaLb1ELb1EEEEEvT2_T3_mT5_T4_T7_jPT6_SK_bb
    .private_segment_fixed_size: 0
    .sgpr_count:     6
    .sgpr_spill_count: 0
    .symbol:         _ZN7rocprim17ROCPRIM_304000_NS6detail20lookback_scan_kernelILNS1_25lookback_scan_determinismE0ELb0ENS1_19wrapped_scan_configINS0_14default_configEaEEPKaPaSt4plusIaEaaNS1_19lookback_scan_stateIaLb1ELb1EEEEEvT2_T3_mT5_T4_T7_jPT6_SK_bb.kd
    .uniform_work_group_size: 1
    .uses_dynamic_stack: false
    .vgpr_count:     0
    .vgpr_spill_count: 0
    .wavefront_size: 64
  - .agpr_count:     0
    .args:
      - .address_space:  global
        .offset:         0
        .size:           8
        .value_kind:     global_buffer
      - .address_space:  global
        .offset:         8
        .size:           8
        .value_kind:     global_buffer
      - .offset:         16
        .size:           8
        .value_kind:     by_value
      - .offset:         24
        .size:           1
        .value_kind:     by_value
      - .offset:         25
        .size:           1
        .value_kind:     by_value
      - .address_space:  global
        .offset:         32
        .size:           8
        .value_kind:     global_buffer
      - .offset:         40
        .size:           4
        .value_kind:     by_value
      - .address_space:  global
        .offset:         48
        .size:           8
        .value_kind:     global_buffer
      - .address_space:  global
        .offset:         56
        .size:           8
        .value_kind:     global_buffer
      - .offset:         64
        .size:           1
        .value_kind:     by_value
      - .offset:         65
        .size:           1
        .value_kind:     by_value
    .group_segment_fixed_size: 6144
    .kernarg_segment_align: 8
    .kernarg_segment_size: 68
    .language:       OpenCL C
    .language_version:
      - 2
      - 0
    .max_flat_workgroup_size: 256
    .name:           _ZN7rocprim17ROCPRIM_304000_NS6detail20lookback_scan_kernelILNS1_25lookback_scan_determinismE0ELb0ENS1_19wrapped_scan_configINS0_14default_configEaEEPKaPaSt4plusIaEaaNS1_19lookback_scan_stateIaLb0ELb1EEEEEvT2_T3_mT5_T4_T7_jPT6_SK_bb
    .private_segment_fixed_size: 0
    .sgpr_count:     32
    .sgpr_spill_count: 0
    .symbol:         _ZN7rocprim17ROCPRIM_304000_NS6detail20lookback_scan_kernelILNS1_25lookback_scan_determinismE0ELb0ENS1_19wrapped_scan_configINS0_14default_configEaEEPKaPaSt4plusIaEaaNS1_19lookback_scan_stateIaLb0ELb1EEEEEvT2_T3_mT5_T4_T7_jPT6_SK_bb.kd
    .uniform_work_group_size: 1
    .uses_dynamic_stack: false
    .vgpr_count:     53
    .vgpr_spill_count: 0
    .wavefront_size: 64
  - .agpr_count:     0
    .args:
      - .address_space:  global
        .offset:         0
        .size:           8
        .value_kind:     global_buffer
      - .offset:         8
        .size:           8
        .value_kind:     by_value
      - .address_space:  global
        .offset:         16
        .size:           8
        .value_kind:     global_buffer
      - .offset:         24
        .size:           1
        .value_kind:     by_value
      - .offset:         32
        .size:           4
        .value_kind:     hidden_block_count_x
      - .offset:         36
        .size:           4
        .value_kind:     hidden_block_count_y
      - .offset:         40
        .size:           4
        .value_kind:     hidden_block_count_z
      - .offset:         44
        .size:           2
        .value_kind:     hidden_group_size_x
      - .offset:         46
        .size:           2
        .value_kind:     hidden_group_size_y
      - .offset:         48
        .size:           2
        .value_kind:     hidden_group_size_z
      - .offset:         50
        .size:           2
        .value_kind:     hidden_remainder_x
      - .offset:         52
        .size:           2
        .value_kind:     hidden_remainder_y
      - .offset:         54
        .size:           2
        .value_kind:     hidden_remainder_z
      - .offset:         72
        .size:           8
        .value_kind:     hidden_global_offset_x
      - .offset:         80
        .size:           8
        .value_kind:     hidden_global_offset_y
      - .offset:         88
        .size:           8
        .value_kind:     hidden_global_offset_z
      - .offset:         96
        .size:           2
        .value_kind:     hidden_grid_dims
    .group_segment_fixed_size: 0
    .kernarg_segment_align: 8
    .kernarg_segment_size: 288
    .language:       OpenCL C
    .language_version:
      - 2
      - 0
    .max_flat_workgroup_size: 256
    .name:           _ZN7rocprim17ROCPRIM_304000_NS6detail16transform_kernelINS1_24wrapped_transform_configINS0_14default_configEaEEaPaS6_NS0_8identityIaEEEEvT1_mT2_T3_
    .private_segment_fixed_size: 0
    .sgpr_count:     44
    .sgpr_spill_count: 0
    .symbol:         _ZN7rocprim17ROCPRIM_304000_NS6detail16transform_kernelINS1_24wrapped_transform_configINS0_14default_configEaEEaPaS6_NS0_8identityIaEEEEvT1_mT2_T3_.kd
    .uniform_work_group_size: 1
    .uses_dynamic_stack: false
    .vgpr_count:     22
    .vgpr_spill_count: 0
    .wavefront_size: 64
  - .agpr_count:     0
    .args:
      - .address_space:  global
        .offset:         0
        .size:           8
        .value_kind:     global_buffer
      - .offset:         8
        .size:           8
        .value_kind:     by_value
      - .offset:         16
        .size:           1
        .value_kind:     by_value
      - .address_space:  global
        .offset:         24
        .size:           8
        .value_kind:     global_buffer
      - .offset:         32
        .size:           1
        .value_kind:     by_value
    .group_segment_fixed_size: 6144
    .kernarg_segment_align: 8
    .kernarg_segment_size: 36
    .language:       OpenCL C
    .language_version:
      - 2
      - 0
    .max_flat_workgroup_size: 256
    .name:           _ZN7rocprim17ROCPRIM_304000_NS6detail18single_scan_kernelILb0ENS1_19wrapped_scan_configINS0_14default_configEaEEPKaPaSt4plusIaEaaEEvT1_mT4_T2_T3_
    .private_segment_fixed_size: 0
    .sgpr_count:     60
    .sgpr_spill_count: 0
    .symbol:         _ZN7rocprim17ROCPRIM_304000_NS6detail18single_scan_kernelILb0ENS1_19wrapped_scan_configINS0_14default_configEaEEPKaPaSt4plusIaEaaEEvT1_mT4_T2_T3_.kd
    .uniform_work_group_size: 1
    .uses_dynamic_stack: false
    .vgpr_count:     30
    .vgpr_spill_count: 0
    .wavefront_size: 64
  - .agpr_count:     0
    .args:
      - .address_space:  global
        .offset:         0
        .size:           8
        .value_kind:     global_buffer
      - .address_space:  global
        .offset:         8
        .size:           8
        .value_kind:     global_buffer
      - .offset:         16
        .size:           4
        .value_kind:     by_value
      - .offset:         20
        .size:           4
        .value_kind:     by_value
      - .offset:         24
        .size:           4
        .value_kind:     by_value
      - .offset:         28
        .size:           1
        .value_kind:     by_value
      - .offset:         29
        .size:           1
        .value_kind:     by_value
      - .offset:         32
        .size:           4
        .value_kind:     hidden_block_count_x
      - .offset:         36
        .size:           4
        .value_kind:     hidden_block_count_y
      - .offset:         40
        .size:           4
        .value_kind:     hidden_block_count_z
      - .offset:         44
        .size:           2
        .value_kind:     hidden_group_size_x
      - .offset:         46
        .size:           2
        .value_kind:     hidden_group_size_y
      - .offset:         48
        .size:           2
        .value_kind:     hidden_group_size_z
      - .offset:         50
        .size:           2
        .value_kind:     hidden_remainder_x
      - .offset:         52
        .size:           2
        .value_kind:     hidden_remainder_y
      - .offset:         54
        .size:           2
        .value_kind:     hidden_remainder_z
      - .offset:         72
        .size:           8
        .value_kind:     hidden_global_offset_x
      - .offset:         80
        .size:           8
        .value_kind:     hidden_global_offset_y
      - .offset:         88
        .size:           8
        .value_kind:     hidden_global_offset_z
      - .offset:         96
        .size:           2
        .value_kind:     hidden_grid_dims
      - .offset:         152
        .size:           4
        .value_kind:     hidden_dynamic_lds_size
    .group_segment_fixed_size: 0
    .kernarg_segment_align: 8
    .kernarg_segment_size: 288
    .language:       OpenCL C
    .language_version:
      - 2
      - 0
    .max_flat_workgroup_size: 1024
    .name:           _ZN2at6native32tensor_kernel_scan_innermost_dimIaSt4plusIaEEEvPT_PKS4_jjjS4_T0_
    .private_segment_fixed_size: 0
    .sgpr_count:     40
    .sgpr_spill_count: 0
    .symbol:         _ZN2at6native32tensor_kernel_scan_innermost_dimIaSt4plusIaEEEvPT_PKS4_jjjS4_T0_.kd
    .uniform_work_group_size: 1
    .uses_dynamic_stack: false
    .vgpr_count:     26
    .vgpr_spill_count: 0
    .wavefront_size: 64
  - .agpr_count:     0
    .args:
      - .address_space:  global
        .offset:         0
        .size:           8
        .value_kind:     global_buffer
      - .address_space:  global
        .offset:         8
        .size:           8
        .value_kind:     global_buffer
      - .offset:         16
        .size:           4
        .value_kind:     by_value
      - .offset:         20
        .size:           4
        .value_kind:     by_value
      - .offset:         24
        .size:           4
        .value_kind:     by_value
      - .offset:         28
        .size:           1
        .value_kind:     by_value
      - .offset:         29
        .size:           1
        .value_kind:     by_value
      - .offset:         32
        .size:           4
        .value_kind:     hidden_block_count_x
      - .offset:         36
        .size:           4
        .value_kind:     hidden_block_count_y
      - .offset:         40
        .size:           4
        .value_kind:     hidden_block_count_z
      - .offset:         44
        .size:           2
        .value_kind:     hidden_group_size_x
      - .offset:         46
        .size:           2
        .value_kind:     hidden_group_size_y
      - .offset:         48
        .size:           2
        .value_kind:     hidden_group_size_z
      - .offset:         50
        .size:           2
        .value_kind:     hidden_remainder_x
      - .offset:         52
        .size:           2
        .value_kind:     hidden_remainder_y
      - .offset:         54
        .size:           2
        .value_kind:     hidden_remainder_z
      - .offset:         72
        .size:           8
        .value_kind:     hidden_global_offset_x
      - .offset:         80
        .size:           8
        .value_kind:     hidden_global_offset_y
      - .offset:         88
        .size:           8
        .value_kind:     hidden_global_offset_z
      - .offset:         96
        .size:           2
        .value_kind:     hidden_grid_dims
    .group_segment_fixed_size: 0
    .kernarg_segment_align: 8
    .kernarg_segment_size: 288
    .language:       OpenCL C
    .language_version:
      - 2
      - 0
    .max_flat_workgroup_size: 1024
    .name:           _ZN2at6native28tensor_kernel_scan_outer_dimIajSt4plusIaEEEvPT_PKS4_jjjS4_T1_
    .private_segment_fixed_size: 0
    .sgpr_count:     34
    .sgpr_spill_count: 0
    .symbol:         _ZN2at6native28tensor_kernel_scan_outer_dimIajSt4plusIaEEEvPT_PKS4_jjjS4_T1_.kd
    .uniform_work_group_size: 1
    .uses_dynamic_stack: false
    .vgpr_count:     9
    .vgpr_spill_count: 0
    .wavefront_size: 64
  - .agpr_count:     0
    .args:
      - .address_space:  global
        .offset:         0
        .size:           8
        .value_kind:     global_buffer
      - .address_space:  global
        .offset:         8
        .size:           8
        .value_kind:     global_buffer
      - .offset:         16
        .size:           4
        .value_kind:     by_value
      - .offset:         20
        .size:           4
        .value_kind:     by_value
      - .offset:         24
        .size:           4
        .value_kind:     by_value
      - .offset:         28
        .size:           1
        .value_kind:     by_value
      - .offset:         29
        .size:           1
        .value_kind:     by_value
      - .offset:         32
        .size:           4
        .value_kind:     hidden_block_count_x
      - .offset:         36
        .size:           4
        .value_kind:     hidden_block_count_y
      - .offset:         40
        .size:           4
        .value_kind:     hidden_block_count_z
      - .offset:         44
        .size:           2
        .value_kind:     hidden_group_size_x
      - .offset:         46
        .size:           2
        .value_kind:     hidden_group_size_y
      - .offset:         48
        .size:           2
        .value_kind:     hidden_group_size_z
      - .offset:         50
        .size:           2
        .value_kind:     hidden_remainder_x
      - .offset:         52
        .size:           2
        .value_kind:     hidden_remainder_y
      - .offset:         54
        .size:           2
        .value_kind:     hidden_remainder_z
      - .offset:         72
        .size:           8
        .value_kind:     hidden_global_offset_x
      - .offset:         80
        .size:           8
        .value_kind:     hidden_global_offset_y
      - .offset:         88
        .size:           8
        .value_kind:     hidden_global_offset_z
      - .offset:         96
        .size:           2
        .value_kind:     hidden_grid_dims
    .group_segment_fixed_size: 0
    .kernarg_segment_align: 8
    .kernarg_segment_size: 288
    .language:       OpenCL C
    .language_version:
      - 2
      - 0
    .max_flat_workgroup_size: 1024
    .name:           _ZN2at6native28tensor_kernel_scan_outer_dimIamSt4plusIaEEEvPT_PKS4_jjjS4_T1_
    .private_segment_fixed_size: 0
    .sgpr_count:     35
    .sgpr_spill_count: 0
    .symbol:         _ZN2at6native28tensor_kernel_scan_outer_dimIamSt4plusIaEEEvPT_PKS4_jjjS4_T1_.kd
    .uniform_work_group_size: 1
    .uses_dynamic_stack: false
    .vgpr_count:     9
    .vgpr_spill_count: 0
    .wavefront_size: 64
  - .agpr_count:     0
    .args:
      - .address_space:  global
        .offset:         0
        .size:           8
        .value_kind:     global_buffer
      - .address_space:  global
        .offset:         8
        .size:           8
        .value_kind:     global_buffer
      - .offset:         16
        .size:           8
        .value_kind:     by_value
      - .offset:         24
        .size:           4
        .value_kind:     by_value
    .group_segment_fixed_size: 32
    .kernarg_segment_align: 8
    .kernarg_segment_size: 28
    .language:       OpenCL C
    .language_version:
      - 2
      - 0
    .max_flat_workgroup_size: 1024
    .name:           _ZN2at4cuda3cub15calc_block_sumsILi512ELi16ELb0EiiEEvPKT2_PT3_li
    .private_segment_fixed_size: 0
    .sgpr_count:     37
    .sgpr_spill_count: 0
    .symbol:         _ZN2at4cuda3cub15calc_block_sumsILi512ELi16ELb0EiiEEvPKT2_PT3_li.kd
    .uniform_work_group_size: 1
    .uses_dynamic_stack: false
    .vgpr_count:     47
    .vgpr_spill_count: 0
    .wavefront_size: 64
  - .agpr_count:     0
    .args:
      - .address_space:  global
        .offset:         0
        .size:           8
        .value_kind:     global_buffer
      - .address_space:  global
        .offset:         8
        .size:           8
        .value_kind:     global_buffer
      - .address_space:  global
        .offset:         16
        .size:           8
        .value_kind:     global_buffer
      - .offset:         24
        .size:           8
        .value_kind:     by_value
      - .offset:         32
        .size:           4
        .value_kind:     by_value
      - .offset:         40
        .size:           4
        .value_kind:     hidden_block_count_x
      - .offset:         44
        .size:           4
        .value_kind:     hidden_block_count_y
      - .offset:         48
        .size:           4
        .value_kind:     hidden_block_count_z
      - .offset:         52
        .size:           2
        .value_kind:     hidden_group_size_x
      - .offset:         54
        .size:           2
        .value_kind:     hidden_group_size_y
      - .offset:         56
        .size:           2
        .value_kind:     hidden_group_size_z
      - .offset:         58
        .size:           2
        .value_kind:     hidden_remainder_x
      - .offset:         60
        .size:           2
        .value_kind:     hidden_remainder_y
      - .offset:         62
        .size:           2
        .value_kind:     hidden_remainder_z
      - .offset:         80
        .size:           8
        .value_kind:     hidden_global_offset_x
      - .offset:         88
        .size:           8
        .value_kind:     hidden_global_offset_y
      - .offset:         96
        .size:           8
        .value_kind:     hidden_global_offset_z
      - .offset:         104
        .size:           2
        .value_kind:     hidden_grid_dims
    .group_segment_fixed_size: 33792
    .kernarg_segment_align: 8
    .kernarg_segment_size: 296
    .language:       OpenCL C
    .language_version:
      - 2
      - 0
    .max_flat_workgroup_size: 1024
    .name:           _ZN2at4cuda3cub17final_scan_kernelILi512ELi16EiEEvPKT1_PS3_S6_li
    .private_segment_fixed_size: 0
    .sgpr_count:     60
    .sgpr_spill_count: 0
    .symbol:         _ZN2at4cuda3cub17final_scan_kernelILi512ELi16EiEEvPKT1_PS3_S6_li.kd
    .uniform_work_group_size: 1
    .uses_dynamic_stack: false
    .vgpr_count:     83
    .vgpr_spill_count: 0
    .wavefront_size: 64
  - .agpr_count:     0
    .args:
      - .address_space:  global
        .offset:         0
        .size:           8
        .value_kind:     global_buffer
      - .offset:         8
        .size:           4
        .value_kind:     by_value
      - .offset:         12
        .size:           4
        .value_kind:     by_value
      - .address_space:  global
        .offset:         16
        .size:           8
        .value_kind:     global_buffer
      - .offset:         24
        .size:           4
        .value_kind:     hidden_block_count_x
      - .offset:         28
        .size:           4
        .value_kind:     hidden_block_count_y
      - .offset:         32
        .size:           4
        .value_kind:     hidden_block_count_z
      - .offset:         36
        .size:           2
        .value_kind:     hidden_group_size_x
      - .offset:         38
        .size:           2
        .value_kind:     hidden_group_size_y
      - .offset:         40
        .size:           2
        .value_kind:     hidden_group_size_z
      - .offset:         42
        .size:           2
        .value_kind:     hidden_remainder_x
      - .offset:         44
        .size:           2
        .value_kind:     hidden_remainder_y
      - .offset:         46
        .size:           2
        .value_kind:     hidden_remainder_z
      - .offset:         64
        .size:           8
        .value_kind:     hidden_global_offset_x
      - .offset:         72
        .size:           8
        .value_kind:     hidden_global_offset_y
      - .offset:         80
        .size:           8
        .value_kind:     hidden_global_offset_z
      - .offset:         88
        .size:           2
        .value_kind:     hidden_grid_dims
    .group_segment_fixed_size: 0
    .kernarg_segment_align: 8
    .kernarg_segment_size: 280
    .language:       OpenCL C
    .language_version:
      - 2
      - 0
    .max_flat_workgroup_size: 256
    .name:           _ZN7rocprim17ROCPRIM_304000_NS6detail31init_lookback_scan_state_kernelINS1_19lookback_scan_stateIiLb1ELb1EEEEEvT_jjPNS5_10value_typeE
    .private_segment_fixed_size: 0
    .sgpr_count:     18
    .sgpr_spill_count: 0
    .symbol:         _ZN7rocprim17ROCPRIM_304000_NS6detail31init_lookback_scan_state_kernelINS1_19lookback_scan_stateIiLb1ELb1EEEEEvT_jjPNS5_10value_typeE.kd
    .uniform_work_group_size: 1
    .uses_dynamic_stack: false
    .vgpr_count:     6
    .vgpr_spill_count: 0
    .wavefront_size: 64
  - .agpr_count:     0
    .args:
      - .address_space:  global
        .offset:         0
        .size:           8
        .value_kind:     global_buffer
      - .offset:         8
        .size:           4
        .value_kind:     by_value
      - .offset:         12
        .size:           4
        .value_kind:     by_value
      - .address_space:  global
        .offset:         16
        .size:           8
        .value_kind:     global_buffer
      - .offset:         24
        .size:           4
        .value_kind:     hidden_block_count_x
      - .offset:         28
        .size:           4
        .value_kind:     hidden_block_count_y
      - .offset:         32
        .size:           4
        .value_kind:     hidden_block_count_z
      - .offset:         36
        .size:           2
        .value_kind:     hidden_group_size_x
      - .offset:         38
        .size:           2
        .value_kind:     hidden_group_size_y
      - .offset:         40
        .size:           2
        .value_kind:     hidden_group_size_z
      - .offset:         42
        .size:           2
        .value_kind:     hidden_remainder_x
      - .offset:         44
        .size:           2
        .value_kind:     hidden_remainder_y
      - .offset:         46
        .size:           2
        .value_kind:     hidden_remainder_z
      - .offset:         64
        .size:           8
        .value_kind:     hidden_global_offset_x
      - .offset:         72
        .size:           8
        .value_kind:     hidden_global_offset_y
      - .offset:         80
        .size:           8
        .value_kind:     hidden_global_offset_z
      - .offset:         88
        .size:           2
        .value_kind:     hidden_grid_dims
    .group_segment_fixed_size: 0
    .kernarg_segment_align: 8
    .kernarg_segment_size: 280
    .language:       OpenCL C
    .language_version:
      - 2
      - 0
    .max_flat_workgroup_size: 256
    .name:           _ZN7rocprim17ROCPRIM_304000_NS6detail31init_lookback_scan_state_kernelINS1_19lookback_scan_stateIiLb0ELb1EEEEEvT_jjPNS5_10value_typeE
    .private_segment_fixed_size: 0
    .sgpr_count:     16
    .sgpr_spill_count: 0
    .symbol:         _ZN7rocprim17ROCPRIM_304000_NS6detail31init_lookback_scan_state_kernelINS1_19lookback_scan_stateIiLb0ELb1EEEEEvT_jjPNS5_10value_typeE.kd
    .uniform_work_group_size: 1
    .uses_dynamic_stack: false
    .vgpr_count:     6
    .vgpr_spill_count: 0
    .wavefront_size: 64
  - .agpr_count:     0
    .args:
      - .address_space:  global
        .offset:         0
        .size:           8
        .value_kind:     global_buffer
      - .address_space:  global
        .offset:         8
        .size:           8
        .value_kind:     global_buffer
      - .offset:         16
        .size:           8
        .value_kind:     by_value
      - .offset:         24
        .size:           4
        .value_kind:     by_value
      - .offset:         28
        .size:           1
        .value_kind:     by_value
      - .address_space:  global
        .offset:         32
        .size:           8
        .value_kind:     global_buffer
      - .offset:         40
        .size:           4
        .value_kind:     by_value
      - .address_space:  global
        .offset:         48
        .size:           8
        .value_kind:     global_buffer
      - .address_space:  global
        .offset:         56
        .size:           8
        .value_kind:     global_buffer
      - .offset:         64
        .size:           1
        .value_kind:     by_value
      - .offset:         65
        .size:           1
        .value_kind:     by_value
    .group_segment_fixed_size: 0
    .kernarg_segment_align: 8
    .kernarg_segment_size: 68
    .language:       OpenCL C
    .language_version:
      - 2
      - 0
    .max_flat_workgroup_size: 256
    .name:           _ZN7rocprim17ROCPRIM_304000_NS6detail20lookback_scan_kernelILNS1_25lookback_scan_determinismE0ELb0ENS1_19wrapped_scan_configINS0_14default_configEiEEPKiPiSt4plusIiEiiNS1_19lookback_scan_stateIiLb1ELb1EEEEEvT2_T3_mT5_T4_T7_jPT6_SK_bb
    .private_segment_fixed_size: 0
    .sgpr_count:     6
    .sgpr_spill_count: 0
    .symbol:         _ZN7rocprim17ROCPRIM_304000_NS6detail20lookback_scan_kernelILNS1_25lookback_scan_determinismE0ELb0ENS1_19wrapped_scan_configINS0_14default_configEiEEPKiPiSt4plusIiEiiNS1_19lookback_scan_stateIiLb1ELb1EEEEEvT2_T3_mT5_T4_T7_jPT6_SK_bb.kd
    .uniform_work_group_size: 1
    .uses_dynamic_stack: false
    .vgpr_count:     0
    .vgpr_spill_count: 0
    .wavefront_size: 64
  - .agpr_count:     0
    .args:
      - .address_space:  global
        .offset:         0
        .size:           8
        .value_kind:     global_buffer
      - .address_space:  global
        .offset:         8
        .size:           8
        .value_kind:     global_buffer
      - .offset:         16
        .size:           8
        .value_kind:     by_value
      - .offset:         24
        .size:           4
        .value_kind:     by_value
      - .offset:         28
        .size:           1
        .value_kind:     by_value
      - .address_space:  global
        .offset:         32
        .size:           8
        .value_kind:     global_buffer
      - .offset:         40
        .size:           4
        .value_kind:     by_value
      - .address_space:  global
        .offset:         48
        .size:           8
        .value_kind:     global_buffer
      - .address_space:  global
        .offset:         56
        .size:           8
        .value_kind:     global_buffer
      - .offset:         64
        .size:           1
        .value_kind:     by_value
      - .offset:         65
        .size:           1
        .value_kind:     by_value
    .group_segment_fixed_size: 21504
    .kernarg_segment_align: 8
    .kernarg_segment_size: 68
    .language:       OpenCL C
    .language_version:
      - 2
      - 0
    .max_flat_workgroup_size: 256
    .name:           _ZN7rocprim17ROCPRIM_304000_NS6detail20lookback_scan_kernelILNS1_25lookback_scan_determinismE0ELb0ENS1_19wrapped_scan_configINS0_14default_configEiEEPKiPiSt4plusIiEiiNS1_19lookback_scan_stateIiLb0ELb1EEEEEvT2_T3_mT5_T4_T7_jPT6_SK_bb
    .private_segment_fixed_size: 0
    .sgpr_count:     30
    .sgpr_spill_count: 0
    .symbol:         _ZN7rocprim17ROCPRIM_304000_NS6detail20lookback_scan_kernelILNS1_25lookback_scan_determinismE0ELb0ENS1_19wrapped_scan_configINS0_14default_configEiEEPKiPiSt4plusIiEiiNS1_19lookback_scan_stateIiLb0ELb1EEEEEvT2_T3_mT5_T4_T7_jPT6_SK_bb.kd
    .uniform_work_group_size: 1
    .uses_dynamic_stack: false
    .vgpr_count:     53
    .vgpr_spill_count: 0
    .wavefront_size: 64
  - .agpr_count:     0
    .args:
      - .address_space:  global
        .offset:         0
        .size:           8
        .value_kind:     global_buffer
      - .offset:         8
        .size:           8
        .value_kind:     by_value
      - .address_space:  global
        .offset:         16
        .size:           8
        .value_kind:     global_buffer
      - .offset:         24
        .size:           1
        .value_kind:     by_value
      - .offset:         32
        .size:           4
        .value_kind:     hidden_block_count_x
      - .offset:         36
        .size:           4
        .value_kind:     hidden_block_count_y
      - .offset:         40
        .size:           4
        .value_kind:     hidden_block_count_z
      - .offset:         44
        .size:           2
        .value_kind:     hidden_group_size_x
      - .offset:         46
        .size:           2
        .value_kind:     hidden_group_size_y
      - .offset:         48
        .size:           2
        .value_kind:     hidden_group_size_z
      - .offset:         50
        .size:           2
        .value_kind:     hidden_remainder_x
      - .offset:         52
        .size:           2
        .value_kind:     hidden_remainder_y
      - .offset:         54
        .size:           2
        .value_kind:     hidden_remainder_z
      - .offset:         72
        .size:           8
        .value_kind:     hidden_global_offset_x
      - .offset:         80
        .size:           8
        .value_kind:     hidden_global_offset_y
      - .offset:         88
        .size:           8
        .value_kind:     hidden_global_offset_z
      - .offset:         96
        .size:           2
        .value_kind:     hidden_grid_dims
    .group_segment_fixed_size: 0
    .kernarg_segment_align: 8
    .kernarg_segment_size: 288
    .language:       OpenCL C
    .language_version:
      - 2
      - 0
    .max_flat_workgroup_size: 256
    .name:           _ZN7rocprim17ROCPRIM_304000_NS6detail16transform_kernelINS1_24wrapped_transform_configINS0_14default_configEiEEiPiS6_NS0_8identityIiEEEEvT1_mT2_T3_
    .private_segment_fixed_size: 0
    .sgpr_count:     20
    .sgpr_spill_count: 0
    .symbol:         _ZN7rocprim17ROCPRIM_304000_NS6detail16transform_kernelINS1_24wrapped_transform_configINS0_14default_configEiEEiPiS6_NS0_8identityIiEEEEvT1_mT2_T3_.kd
    .uniform_work_group_size: 1
    .uses_dynamic_stack: false
    .vgpr_count:     10
    .vgpr_spill_count: 0
    .wavefront_size: 64
  - .agpr_count:     0
    .args:
      - .address_space:  global
        .offset:         0
        .size:           8
        .value_kind:     global_buffer
      - .offset:         8
        .size:           8
        .value_kind:     by_value
      - .offset:         16
        .size:           4
        .value_kind:     by_value
      - .address_space:  global
        .offset:         24
        .size:           8
        .value_kind:     global_buffer
      - .offset:         32
        .size:           1
        .value_kind:     by_value
    .group_segment_fixed_size: 21504
    .kernarg_segment_align: 8
    .kernarg_segment_size: 36
    .language:       OpenCL C
    .language_version:
      - 2
      - 0
    .max_flat_workgroup_size: 256
    .name:           _ZN7rocprim17ROCPRIM_304000_NS6detail18single_scan_kernelILb0ENS1_19wrapped_scan_configINS0_14default_configEiEEPKiPiSt4plusIiEiiEEvT1_mT4_T2_T3_
    .private_segment_fixed_size: 0
    .sgpr_count:     54
    .sgpr_spill_count: 0
    .symbol:         _ZN7rocprim17ROCPRIM_304000_NS6detail18single_scan_kernelILb0ENS1_19wrapped_scan_configINS0_14default_configEiEEPKiPiSt4plusIiEiiEEvT1_mT4_T2_T3_.kd
    .uniform_work_group_size: 1
    .uses_dynamic_stack: false
    .vgpr_count:     29
    .vgpr_spill_count: 0
    .wavefront_size: 64
  - .agpr_count:     0
    .args:
      - .address_space:  global
        .offset:         0
        .size:           8
        .value_kind:     global_buffer
      - .address_space:  global
        .offset:         8
        .size:           8
        .value_kind:     global_buffer
      - .offset:         16
        .size:           4
        .value_kind:     by_value
      - .offset:         20
        .size:           4
        .value_kind:     by_value
      - .offset:         24
        .size:           4
        .value_kind:     by_value
      - .offset:         28
        .size:           4
        .value_kind:     by_value
      - .offset:         32
        .size:           1
        .value_kind:     by_value
      - .offset:         40
        .size:           4
        .value_kind:     hidden_block_count_x
      - .offset:         44
        .size:           4
        .value_kind:     hidden_block_count_y
      - .offset:         48
        .size:           4
        .value_kind:     hidden_block_count_z
      - .offset:         52
        .size:           2
        .value_kind:     hidden_group_size_x
      - .offset:         54
        .size:           2
        .value_kind:     hidden_group_size_y
      - .offset:         56
        .size:           2
        .value_kind:     hidden_group_size_z
      - .offset:         58
        .size:           2
        .value_kind:     hidden_remainder_x
      - .offset:         60
        .size:           2
        .value_kind:     hidden_remainder_y
      - .offset:         62
        .size:           2
        .value_kind:     hidden_remainder_z
      - .offset:         80
        .size:           8
        .value_kind:     hidden_global_offset_x
      - .offset:         88
        .size:           8
        .value_kind:     hidden_global_offset_y
      - .offset:         96
        .size:           8
        .value_kind:     hidden_global_offset_z
      - .offset:         104
        .size:           2
        .value_kind:     hidden_grid_dims
      - .offset:         160
        .size:           4
        .value_kind:     hidden_dynamic_lds_size
    .group_segment_fixed_size: 0
    .kernarg_segment_align: 8
    .kernarg_segment_size: 296
    .language:       OpenCL C
    .language_version:
      - 2
      - 0
    .max_flat_workgroup_size: 1024
    .name:           _ZN2at6native32tensor_kernel_scan_innermost_dimIiSt4plusIiEEEvPT_PKS4_jjjS4_T0_
    .private_segment_fixed_size: 0
    .sgpr_count:     40
    .sgpr_spill_count: 0
    .symbol:         _ZN2at6native32tensor_kernel_scan_innermost_dimIiSt4plusIiEEEvPT_PKS4_jjjS4_T0_.kd
    .uniform_work_group_size: 1
    .uses_dynamic_stack: false
    .vgpr_count:     24
    .vgpr_spill_count: 0
    .wavefront_size: 64
  - .agpr_count:     0
    .args:
      - .address_space:  global
        .offset:         0
        .size:           8
        .value_kind:     global_buffer
      - .address_space:  global
        .offset:         8
        .size:           8
        .value_kind:     global_buffer
      - .offset:         16
        .size:           4
        .value_kind:     by_value
      - .offset:         20
        .size:           4
        .value_kind:     by_value
      - .offset:         24
        .size:           4
        .value_kind:     by_value
      - .offset:         28
        .size:           4
        .value_kind:     by_value
      - .offset:         32
        .size:           1
        .value_kind:     by_value
      - .offset:         40
        .size:           4
        .value_kind:     hidden_block_count_x
      - .offset:         44
        .size:           4
        .value_kind:     hidden_block_count_y
      - .offset:         48
        .size:           4
        .value_kind:     hidden_block_count_z
      - .offset:         52
        .size:           2
        .value_kind:     hidden_group_size_x
      - .offset:         54
        .size:           2
        .value_kind:     hidden_group_size_y
      - .offset:         56
        .size:           2
        .value_kind:     hidden_group_size_z
      - .offset:         58
        .size:           2
        .value_kind:     hidden_remainder_x
      - .offset:         60
        .size:           2
        .value_kind:     hidden_remainder_y
      - .offset:         62
        .size:           2
        .value_kind:     hidden_remainder_z
      - .offset:         80
        .size:           8
        .value_kind:     hidden_global_offset_x
      - .offset:         88
        .size:           8
        .value_kind:     hidden_global_offset_y
      - .offset:         96
        .size:           8
        .value_kind:     hidden_global_offset_z
      - .offset:         104
        .size:           2
        .value_kind:     hidden_grid_dims
    .group_segment_fixed_size: 0
    .kernarg_segment_align: 8
    .kernarg_segment_size: 296
    .language:       OpenCL C
    .language_version:
      - 2
      - 0
    .max_flat_workgroup_size: 1024
    .name:           _ZN2at6native28tensor_kernel_scan_outer_dimIijSt4plusIiEEEvPT_PKS4_jjjS4_T1_
    .private_segment_fixed_size: 0
    .sgpr_count:     36
    .sgpr_spill_count: 0
    .symbol:         _ZN2at6native28tensor_kernel_scan_outer_dimIijSt4plusIiEEEvPT_PKS4_jjjS4_T1_.kd
    .uniform_work_group_size: 1
    .uses_dynamic_stack: false
    .vgpr_count:     9
    .vgpr_spill_count: 0
    .wavefront_size: 64
  - .agpr_count:     0
    .args:
      - .address_space:  global
        .offset:         0
        .size:           8
        .value_kind:     global_buffer
      - .address_space:  global
        .offset:         8
        .size:           8
        .value_kind:     global_buffer
      - .offset:         16
        .size:           4
        .value_kind:     by_value
      - .offset:         20
        .size:           4
        .value_kind:     by_value
      - .offset:         24
        .size:           4
        .value_kind:     by_value
      - .offset:         28
        .size:           4
        .value_kind:     by_value
      - .offset:         32
        .size:           1
        .value_kind:     by_value
      - .offset:         40
        .size:           4
        .value_kind:     hidden_block_count_x
      - .offset:         44
        .size:           4
        .value_kind:     hidden_block_count_y
      - .offset:         48
        .size:           4
        .value_kind:     hidden_block_count_z
      - .offset:         52
        .size:           2
        .value_kind:     hidden_group_size_x
      - .offset:         54
        .size:           2
        .value_kind:     hidden_group_size_y
      - .offset:         56
        .size:           2
        .value_kind:     hidden_group_size_z
      - .offset:         58
        .size:           2
        .value_kind:     hidden_remainder_x
      - .offset:         60
        .size:           2
        .value_kind:     hidden_remainder_y
      - .offset:         62
        .size:           2
        .value_kind:     hidden_remainder_z
      - .offset:         80
        .size:           8
        .value_kind:     hidden_global_offset_x
      - .offset:         88
        .size:           8
        .value_kind:     hidden_global_offset_y
      - .offset:         96
        .size:           8
        .value_kind:     hidden_global_offset_z
      - .offset:         104
        .size:           2
        .value_kind:     hidden_grid_dims
    .group_segment_fixed_size: 0
    .kernarg_segment_align: 8
    .kernarg_segment_size: 296
    .language:       OpenCL C
    .language_version:
      - 2
      - 0
    .max_flat_workgroup_size: 1024
    .name:           _ZN2at6native28tensor_kernel_scan_outer_dimIimSt4plusIiEEEvPT_PKS4_jjjS4_T1_
    .private_segment_fixed_size: 0
    .sgpr_count:     35
    .sgpr_spill_count: 0
    .symbol:         _ZN2at6native28tensor_kernel_scan_outer_dimIimSt4plusIiEEEvPT_PKS4_jjjS4_T1_.kd
    .uniform_work_group_size: 1
    .uses_dynamic_stack: false
    .vgpr_count:     9
    .vgpr_spill_count: 0
    .wavefront_size: 64
  - .agpr_count:     0
    .args:
      - .address_space:  global
        .offset:         0
        .size:           8
        .value_kind:     global_buffer
      - .address_space:  global
        .offset:         8
        .size:           8
        .value_kind:     global_buffer
      - .offset:         16
        .size:           8
        .value_kind:     by_value
      - .offset:         24
        .size:           4
        .value_kind:     by_value
    .group_segment_fixed_size: 32
    .kernarg_segment_align: 8
    .kernarg_segment_size: 28
    .language:       OpenCL C
    .language_version:
      - 2
      - 0
    .max_flat_workgroup_size: 1024
    .name:           _ZN2at4cuda3cub15calc_block_sumsILi256ELi16ELb0EllEEvPKT2_PT3_li
    .private_segment_fixed_size: 0
    .sgpr_count:     74
    .sgpr_spill_count: 0
    .symbol:         _ZN2at4cuda3cub15calc_block_sumsILi256ELi16ELb0EllEEvPKT2_PT3_li.kd
    .uniform_work_group_size: 1
    .uses_dynamic_stack: false
    .vgpr_count:     72
    .vgpr_spill_count: 0
    .wavefront_size: 64
  - .agpr_count:     0
    .args:
      - .address_space:  global
        .offset:         0
        .size:           8
        .value_kind:     global_buffer
      - .address_space:  global
        .offset:         8
        .size:           8
        .value_kind:     global_buffer
      - .address_space:  global
        .offset:         16
        .size:           8
        .value_kind:     global_buffer
      - .offset:         24
        .size:           8
        .value_kind:     by_value
      - .offset:         32
        .size:           4
        .value_kind:     by_value
      - .offset:         40
        .size:           4
        .value_kind:     hidden_block_count_x
      - .offset:         44
        .size:           4
        .value_kind:     hidden_block_count_y
      - .offset:         48
        .size:           4
        .value_kind:     hidden_block_count_z
      - .offset:         52
        .size:           2
        .value_kind:     hidden_group_size_x
      - .offset:         54
        .size:           2
        .value_kind:     hidden_group_size_y
      - .offset:         56
        .size:           2
        .value_kind:     hidden_group_size_z
      - .offset:         58
        .size:           2
        .value_kind:     hidden_remainder_x
      - .offset:         60
        .size:           2
        .value_kind:     hidden_remainder_y
      - .offset:         62
        .size:           2
        .value_kind:     hidden_remainder_z
      - .offset:         80
        .size:           8
        .value_kind:     hidden_global_offset_x
      - .offset:         88
        .size:           8
        .value_kind:     hidden_global_offset_y
      - .offset:         96
        .size:           8
        .value_kind:     hidden_global_offset_z
      - .offset:         104
        .size:           2
        .value_kind:     hidden_grid_dims
    .group_segment_fixed_size: 33792
    .kernarg_segment_align: 8
    .kernarg_segment_size: 296
    .language:       OpenCL C
    .language_version:
      - 2
      - 0
    .max_flat_workgroup_size: 1024
    .name:           _ZN2at4cuda3cub17final_scan_kernelILi256ELi16ElEEvPKT1_PS3_S6_li
    .private_segment_fixed_size: 0
    .sgpr_count:     76
    .sgpr_spill_count: 0
    .symbol:         _ZN2at4cuda3cub17final_scan_kernelILi256ELi16ElEEvPKT1_PS3_S6_li.kd
    .uniform_work_group_size: 1
    .uses_dynamic_stack: false
    .vgpr_count:     117
    .vgpr_spill_count: 0
    .wavefront_size: 64
  - .agpr_count:     0
    .args:
      - .address_space:  global
        .offset:         0
        .size:           8
        .value_kind:     global_buffer
      - .offset:         8
        .size:           4
        .value_kind:     by_value
      - .offset:         12
        .size:           4
        .value_kind:     by_value
      - .address_space:  global
        .offset:         16
        .size:           8
        .value_kind:     global_buffer
      - .offset:         24
        .size:           4
        .value_kind:     hidden_block_count_x
      - .offset:         28
        .size:           4
        .value_kind:     hidden_block_count_y
      - .offset:         32
        .size:           4
        .value_kind:     hidden_block_count_z
      - .offset:         36
        .size:           2
        .value_kind:     hidden_group_size_x
      - .offset:         38
        .size:           2
        .value_kind:     hidden_group_size_y
      - .offset:         40
        .size:           2
        .value_kind:     hidden_group_size_z
      - .offset:         42
        .size:           2
        .value_kind:     hidden_remainder_x
      - .offset:         44
        .size:           2
        .value_kind:     hidden_remainder_y
      - .offset:         46
        .size:           2
        .value_kind:     hidden_remainder_z
      - .offset:         64
        .size:           8
        .value_kind:     hidden_global_offset_x
      - .offset:         72
        .size:           8
        .value_kind:     hidden_global_offset_y
      - .offset:         80
        .size:           8
        .value_kind:     hidden_global_offset_z
      - .offset:         88
        .size:           2
        .value_kind:     hidden_grid_dims
    .group_segment_fixed_size: 0
    .kernarg_segment_align: 8
    .kernarg_segment_size: 280
    .language:       OpenCL C
    .language_version:
      - 2
      - 0
    .max_flat_workgroup_size: 256
    .name:           _ZN7rocprim17ROCPRIM_304000_NS6detail31init_lookback_scan_state_kernelINS1_19lookback_scan_stateIlLb1ELb1EEEEEvT_jjPNS5_10value_typeE
    .private_segment_fixed_size: 0
    .sgpr_count:     20
    .sgpr_spill_count: 0
    .symbol:         _ZN7rocprim17ROCPRIM_304000_NS6detail31init_lookback_scan_state_kernelINS1_19lookback_scan_stateIlLb1ELb1EEEEEvT_jjPNS5_10value_typeE.kd
    .uniform_work_group_size: 1
    .uses_dynamic_stack: false
    .vgpr_count:     10
    .vgpr_spill_count: 0
    .wavefront_size: 64
  - .agpr_count:     0
    .args:
      - .address_space:  global
        .offset:         0
        .size:           8
        .value_kind:     global_buffer
      - .offset:         8
        .size:           4
        .value_kind:     by_value
      - .offset:         12
        .size:           4
        .value_kind:     by_value
      - .address_space:  global
        .offset:         16
        .size:           8
        .value_kind:     global_buffer
      - .offset:         24
        .size:           4
        .value_kind:     hidden_block_count_x
      - .offset:         28
        .size:           4
        .value_kind:     hidden_block_count_y
      - .offset:         32
        .size:           4
        .value_kind:     hidden_block_count_z
      - .offset:         36
        .size:           2
        .value_kind:     hidden_group_size_x
      - .offset:         38
        .size:           2
        .value_kind:     hidden_group_size_y
      - .offset:         40
        .size:           2
        .value_kind:     hidden_group_size_z
      - .offset:         42
        .size:           2
        .value_kind:     hidden_remainder_x
      - .offset:         44
        .size:           2
        .value_kind:     hidden_remainder_y
      - .offset:         46
        .size:           2
        .value_kind:     hidden_remainder_z
      - .offset:         64
        .size:           8
        .value_kind:     hidden_global_offset_x
      - .offset:         72
        .size:           8
        .value_kind:     hidden_global_offset_y
      - .offset:         80
        .size:           8
        .value_kind:     hidden_global_offset_z
      - .offset:         88
        .size:           2
        .value_kind:     hidden_grid_dims
    .group_segment_fixed_size: 0
    .kernarg_segment_align: 8
    .kernarg_segment_size: 280
    .language:       OpenCL C
    .language_version:
      - 2
      - 0
    .max_flat_workgroup_size: 256
    .name:           _ZN7rocprim17ROCPRIM_304000_NS6detail31init_lookback_scan_state_kernelINS1_19lookback_scan_stateIlLb0ELb1EEEEEvT_jjPNS5_10value_typeE
    .private_segment_fixed_size: 0
    .sgpr_count:     20
    .sgpr_spill_count: 0
    .symbol:         _ZN7rocprim17ROCPRIM_304000_NS6detail31init_lookback_scan_state_kernelINS1_19lookback_scan_stateIlLb0ELb1EEEEEvT_jjPNS5_10value_typeE.kd
    .uniform_work_group_size: 1
    .uses_dynamic_stack: false
    .vgpr_count:     10
    .vgpr_spill_count: 0
    .wavefront_size: 64
  - .agpr_count:     0
    .args:
      - .address_space:  global
        .offset:         0
        .size:           8
        .value_kind:     global_buffer
      - .address_space:  global
        .offset:         8
        .size:           8
        .value_kind:     global_buffer
      - .offset:         16
        .size:           8
        .value_kind:     by_value
      - .offset:         24
        .size:           8
        .value_kind:     by_value
      - .offset:         32
        .size:           1
        .value_kind:     by_value
      - .address_space:  global
        .offset:         40
        .size:           8
        .value_kind:     global_buffer
      - .offset:         48
        .size:           4
        .value_kind:     by_value
      - .address_space:  global
        .offset:         56
        .size:           8
        .value_kind:     global_buffer
      - .address_space:  global
        .offset:         64
        .size:           8
        .value_kind:     global_buffer
      - .offset:         72
        .size:           1
        .value_kind:     by_value
      - .offset:         73
        .size:           1
        .value_kind:     by_value
    .group_segment_fixed_size: 0
    .kernarg_segment_align: 8
    .kernarg_segment_size: 76
    .language:       OpenCL C
    .language_version:
      - 2
      - 0
    .max_flat_workgroup_size: 256
    .name:           _ZN7rocprim17ROCPRIM_304000_NS6detail20lookback_scan_kernelILNS1_25lookback_scan_determinismE0ELb0ENS1_19wrapped_scan_configINS0_14default_configElEEPKlPlSt4plusIlEllNS1_19lookback_scan_stateIlLb1ELb1EEEEEvT2_T3_mT5_T4_T7_jPT6_SK_bb
    .private_segment_fixed_size: 0
    .sgpr_count:     6
    .sgpr_spill_count: 0
    .symbol:         _ZN7rocprim17ROCPRIM_304000_NS6detail20lookback_scan_kernelILNS1_25lookback_scan_determinismE0ELb0ENS1_19wrapped_scan_configINS0_14default_configElEEPKlPlSt4plusIlEllNS1_19lookback_scan_stateIlLb1ELb1EEEEEvT2_T3_mT5_T4_T7_jPT6_SK_bb.kd
    .uniform_work_group_size: 1
    .uses_dynamic_stack: false
    .vgpr_count:     0
    .vgpr_spill_count: 0
    .wavefront_size: 64
  - .agpr_count:     0
    .args:
      - .address_space:  global
        .offset:         0
        .size:           8
        .value_kind:     global_buffer
      - .address_space:  global
        .offset:         8
        .size:           8
        .value_kind:     global_buffer
      - .offset:         16
        .size:           8
        .value_kind:     by_value
      - .offset:         24
        .size:           8
        .value_kind:     by_value
      - .offset:         32
        .size:           1
        .value_kind:     by_value
      - .address_space:  global
        .offset:         40
        .size:           8
        .value_kind:     global_buffer
      - .offset:         48
        .size:           4
        .value_kind:     by_value
      - .address_space:  global
        .offset:         56
        .size:           8
        .value_kind:     global_buffer
      - .address_space:  global
        .offset:         64
        .size:           8
        .value_kind:     global_buffer
      - .offset:         72
        .size:           1
        .value_kind:     by_value
      - .offset:         73
        .size:           1
        .value_kind:     by_value
    .group_segment_fixed_size: 30720
    .kernarg_segment_align: 8
    .kernarg_segment_size: 76
    .language:       OpenCL C
    .language_version:
      - 2
      - 0
    .max_flat_workgroup_size: 256
    .name:           _ZN7rocprim17ROCPRIM_304000_NS6detail20lookback_scan_kernelILNS1_25lookback_scan_determinismE0ELb0ENS1_19wrapped_scan_configINS0_14default_configElEEPKlPlSt4plusIlEllNS1_19lookback_scan_stateIlLb0ELb1EEEEEvT2_T3_mT5_T4_T7_jPT6_SK_bb
    .private_segment_fixed_size: 0
    .sgpr_count:     74
    .sgpr_spill_count: 0
    .symbol:         _ZN7rocprim17ROCPRIM_304000_NS6detail20lookback_scan_kernelILNS1_25lookback_scan_determinismE0ELb0ENS1_19wrapped_scan_configINS0_14default_configElEEPKlPlSt4plusIlEllNS1_19lookback_scan_stateIlLb0ELb1EEEEEvT2_T3_mT5_T4_T7_jPT6_SK_bb.kd
    .uniform_work_group_size: 1
    .uses_dynamic_stack: false
    .vgpr_count:     70
    .vgpr_spill_count: 0
    .wavefront_size: 64
  - .agpr_count:     0
    .args:
      - .address_space:  global
        .offset:         0
        .size:           8
        .value_kind:     global_buffer
      - .offset:         8
        .size:           8
        .value_kind:     by_value
      - .address_space:  global
        .offset:         16
        .size:           8
        .value_kind:     global_buffer
      - .offset:         24
        .size:           1
        .value_kind:     by_value
      - .offset:         32
        .size:           4
        .value_kind:     hidden_block_count_x
      - .offset:         36
        .size:           4
        .value_kind:     hidden_block_count_y
      - .offset:         40
        .size:           4
        .value_kind:     hidden_block_count_z
      - .offset:         44
        .size:           2
        .value_kind:     hidden_group_size_x
      - .offset:         46
        .size:           2
        .value_kind:     hidden_group_size_y
      - .offset:         48
        .size:           2
        .value_kind:     hidden_group_size_z
      - .offset:         50
        .size:           2
        .value_kind:     hidden_remainder_x
      - .offset:         52
        .size:           2
        .value_kind:     hidden_remainder_y
      - .offset:         54
        .size:           2
        .value_kind:     hidden_remainder_z
      - .offset:         72
        .size:           8
        .value_kind:     hidden_global_offset_x
      - .offset:         80
        .size:           8
        .value_kind:     hidden_global_offset_y
      - .offset:         88
        .size:           8
        .value_kind:     hidden_global_offset_z
      - .offset:         96
        .size:           2
        .value_kind:     hidden_grid_dims
    .group_segment_fixed_size: 0
    .kernarg_segment_align: 8
    .kernarg_segment_size: 288
    .language:       OpenCL C
    .language_version:
      - 2
      - 0
    .max_flat_workgroup_size: 256
    .name:           _ZN7rocprim17ROCPRIM_304000_NS6detail16transform_kernelINS1_24wrapped_transform_configINS0_14default_configElEElPlS6_NS0_8identityIlEEEEvT1_mT2_T3_
    .private_segment_fixed_size: 0
    .sgpr_count:     18
    .sgpr_spill_count: 0
    .symbol:         _ZN7rocprim17ROCPRIM_304000_NS6detail16transform_kernelINS1_24wrapped_transform_configINS0_14default_configElEElPlS6_NS0_8identityIlEEEEvT1_mT2_T3_.kd
    .uniform_work_group_size: 1
    .uses_dynamic_stack: false
    .vgpr_count:     10
    .vgpr_spill_count: 0
    .wavefront_size: 64
  - .agpr_count:     0
    .args:
      - .address_space:  global
        .offset:         0
        .size:           8
        .value_kind:     global_buffer
      - .offset:         8
        .size:           8
        .value_kind:     by_value
      - .offset:         16
        .size:           8
        .value_kind:     by_value
      - .address_space:  global
        .offset:         24
        .size:           8
        .value_kind:     global_buffer
      - .offset:         32
        .size:           1
        .value_kind:     by_value
    .group_segment_fixed_size: 30720
    .kernarg_segment_align: 8
    .kernarg_segment_size: 36
    .language:       OpenCL C
    .language_version:
      - 2
      - 0
    .max_flat_workgroup_size: 256
    .name:           _ZN7rocprim17ROCPRIM_304000_NS6detail18single_scan_kernelILb0ENS1_19wrapped_scan_configINS0_14default_configElEEPKlPlSt4plusIlEllEEvT1_mT4_T2_T3_
    .private_segment_fixed_size: 0
    .sgpr_count:     74
    .sgpr_spill_count: 0
    .symbol:         _ZN7rocprim17ROCPRIM_304000_NS6detail18single_scan_kernelILb0ENS1_19wrapped_scan_configINS0_14default_configElEEPKlPlSt4plusIlEllEEvT1_mT4_T2_T3_.kd
    .uniform_work_group_size: 1
    .uses_dynamic_stack: false
    .vgpr_count:     54
    .vgpr_spill_count: 0
    .wavefront_size: 64
  - .agpr_count:     0
    .args:
      - .address_space:  global
        .offset:         0
        .size:           8
        .value_kind:     global_buffer
      - .address_space:  global
        .offset:         8
        .size:           8
        .value_kind:     global_buffer
      - .offset:         16
        .size:           4
        .value_kind:     by_value
      - .offset:         20
        .size:           4
        .value_kind:     by_value
      - .offset:         24
        .size:           4
        .value_kind:     by_value
      - .offset:         32
        .size:           8
        .value_kind:     by_value
      - .offset:         40
        .size:           1
        .value_kind:     by_value
      - .offset:         48
        .size:           4
        .value_kind:     hidden_block_count_x
      - .offset:         52
        .size:           4
        .value_kind:     hidden_block_count_y
      - .offset:         56
        .size:           4
        .value_kind:     hidden_block_count_z
      - .offset:         60
        .size:           2
        .value_kind:     hidden_group_size_x
      - .offset:         62
        .size:           2
        .value_kind:     hidden_group_size_y
      - .offset:         64
        .size:           2
        .value_kind:     hidden_group_size_z
      - .offset:         66
        .size:           2
        .value_kind:     hidden_remainder_x
      - .offset:         68
        .size:           2
        .value_kind:     hidden_remainder_y
      - .offset:         70
        .size:           2
        .value_kind:     hidden_remainder_z
      - .offset:         88
        .size:           8
        .value_kind:     hidden_global_offset_x
      - .offset:         96
        .size:           8
        .value_kind:     hidden_global_offset_y
      - .offset:         104
        .size:           8
        .value_kind:     hidden_global_offset_z
      - .offset:         112
        .size:           2
        .value_kind:     hidden_grid_dims
      - .offset:         168
        .size:           4
        .value_kind:     hidden_dynamic_lds_size
    .group_segment_fixed_size: 0
    .kernarg_segment_align: 8
    .kernarg_segment_size: 304
    .language:       OpenCL C
    .language_version:
      - 2
      - 0
    .max_flat_workgroup_size: 1024
    .name:           _ZN2at6native32tensor_kernel_scan_innermost_dimIlSt4plusIlEEEvPT_PKS4_jjjS4_T0_
    .private_segment_fixed_size: 0
    .sgpr_count:     41
    .sgpr_spill_count: 0
    .symbol:         _ZN2at6native32tensor_kernel_scan_innermost_dimIlSt4plusIlEEEvPT_PKS4_jjjS4_T0_.kd
    .uniform_work_group_size: 1
    .uses_dynamic_stack: false
    .vgpr_count:     24
    .vgpr_spill_count: 0
    .wavefront_size: 64
  - .agpr_count:     0
    .args:
      - .address_space:  global
        .offset:         0
        .size:           8
        .value_kind:     global_buffer
      - .address_space:  global
        .offset:         8
        .size:           8
        .value_kind:     global_buffer
      - .offset:         16
        .size:           4
        .value_kind:     by_value
      - .offset:         20
        .size:           4
        .value_kind:     by_value
      - .offset:         24
        .size:           4
        .value_kind:     by_value
      - .offset:         32
        .size:           8
        .value_kind:     by_value
      - .offset:         40
        .size:           1
        .value_kind:     by_value
      - .offset:         48
        .size:           4
        .value_kind:     hidden_block_count_x
      - .offset:         52
        .size:           4
        .value_kind:     hidden_block_count_y
      - .offset:         56
        .size:           4
        .value_kind:     hidden_block_count_z
      - .offset:         60
        .size:           2
        .value_kind:     hidden_group_size_x
      - .offset:         62
        .size:           2
        .value_kind:     hidden_group_size_y
      - .offset:         64
        .size:           2
        .value_kind:     hidden_group_size_z
      - .offset:         66
        .size:           2
        .value_kind:     hidden_remainder_x
      - .offset:         68
        .size:           2
        .value_kind:     hidden_remainder_y
      - .offset:         70
        .size:           2
        .value_kind:     hidden_remainder_z
      - .offset:         88
        .size:           8
        .value_kind:     hidden_global_offset_x
      - .offset:         96
        .size:           8
        .value_kind:     hidden_global_offset_y
      - .offset:         104
        .size:           8
        .value_kind:     hidden_global_offset_z
      - .offset:         112
        .size:           2
        .value_kind:     hidden_grid_dims
    .group_segment_fixed_size: 0
    .kernarg_segment_align: 8
    .kernarg_segment_size: 304
    .language:       OpenCL C
    .language_version:
      - 2
      - 0
    .max_flat_workgroup_size: 1024
    .name:           _ZN2at6native28tensor_kernel_scan_outer_dimIljSt4plusIlEEEvPT_PKS4_jjjS4_T1_
    .private_segment_fixed_size: 0
    .sgpr_count:     37
    .sgpr_spill_count: 0
    .symbol:         _ZN2at6native28tensor_kernel_scan_outer_dimIljSt4plusIlEEEvPT_PKS4_jjjS4_T1_.kd
    .uniform_work_group_size: 1
    .uses_dynamic_stack: false
    .vgpr_count:     12
    .vgpr_spill_count: 0
    .wavefront_size: 64
  - .agpr_count:     0
    .args:
      - .address_space:  global
        .offset:         0
        .size:           8
        .value_kind:     global_buffer
      - .address_space:  global
        .offset:         8
        .size:           8
        .value_kind:     global_buffer
      - .offset:         16
        .size:           4
        .value_kind:     by_value
      - .offset:         20
        .size:           4
        .value_kind:     by_value
      - .offset:         24
        .size:           4
        .value_kind:     by_value
      - .offset:         32
        .size:           8
        .value_kind:     by_value
      - .offset:         40
        .size:           1
        .value_kind:     by_value
      - .offset:         48
        .size:           4
        .value_kind:     hidden_block_count_x
      - .offset:         52
        .size:           4
        .value_kind:     hidden_block_count_y
      - .offset:         56
        .size:           4
        .value_kind:     hidden_block_count_z
      - .offset:         60
        .size:           2
        .value_kind:     hidden_group_size_x
      - .offset:         62
        .size:           2
        .value_kind:     hidden_group_size_y
      - .offset:         64
        .size:           2
        .value_kind:     hidden_group_size_z
      - .offset:         66
        .size:           2
        .value_kind:     hidden_remainder_x
      - .offset:         68
        .size:           2
        .value_kind:     hidden_remainder_y
      - .offset:         70
        .size:           2
        .value_kind:     hidden_remainder_z
      - .offset:         88
        .size:           8
        .value_kind:     hidden_global_offset_x
      - .offset:         96
        .size:           8
        .value_kind:     hidden_global_offset_y
      - .offset:         104
        .size:           8
        .value_kind:     hidden_global_offset_z
      - .offset:         112
        .size:           2
        .value_kind:     hidden_grid_dims
    .group_segment_fixed_size: 0
    .kernarg_segment_align: 8
    .kernarg_segment_size: 304
    .language:       OpenCL C
    .language_version:
      - 2
      - 0
    .max_flat_workgroup_size: 1024
    .name:           _ZN2at6native28tensor_kernel_scan_outer_dimIlmSt4plusIlEEEvPT_PKS4_jjjS4_T1_
    .private_segment_fixed_size: 0
    .sgpr_count:     36
    .sgpr_spill_count: 0
    .symbol:         _ZN2at6native28tensor_kernel_scan_outer_dimIlmSt4plusIlEEEvPT_PKS4_jjjS4_T1_.kd
    .uniform_work_group_size: 1
    .uses_dynamic_stack: false
    .vgpr_count:     12
    .vgpr_spill_count: 0
    .wavefront_size: 64
  - .agpr_count:     0
    .args:
      - .address_space:  global
        .offset:         0
        .size:           8
        .value_kind:     global_buffer
      - .address_space:  global
        .offset:         8
        .size:           8
        .value_kind:     global_buffer
      - .offset:         16
        .size:           8
        .value_kind:     by_value
      - .offset:         24
        .size:           4
        .value_kind:     by_value
    .group_segment_fixed_size: 16
    .kernarg_segment_align: 8
    .kernarg_segment_size: 28
    .language:       OpenCL C
    .language_version:
      - 2
      - 0
    .max_flat_workgroup_size: 1024
    .name:           _ZN2at4cuda3cub15calc_block_sumsILi512ELi16ELb0EssEEvPKT2_PT3_li
    .private_segment_fixed_size: 0
    .sgpr_count:     31
    .sgpr_spill_count: 0
    .symbol:         _ZN2at4cuda3cub15calc_block_sumsILi512ELi16ELb0EssEEvPKT2_PT3_li.kd
    .uniform_work_group_size: 1
    .uses_dynamic_stack: false
    .vgpr_count:     43
    .vgpr_spill_count: 0
    .wavefront_size: 64
  - .agpr_count:     0
    .args:
      - .address_space:  global
        .offset:         0
        .size:           8
        .value_kind:     global_buffer
      - .address_space:  global
        .offset:         8
        .size:           8
        .value_kind:     global_buffer
      - .address_space:  global
        .offset:         16
        .size:           8
        .value_kind:     global_buffer
      - .offset:         24
        .size:           8
        .value_kind:     by_value
      - .offset:         32
        .size:           4
        .value_kind:     by_value
      - .offset:         40
        .size:           4
        .value_kind:     hidden_block_count_x
      - .offset:         44
        .size:           4
        .value_kind:     hidden_block_count_y
      - .offset:         48
        .size:           4
        .value_kind:     hidden_block_count_z
      - .offset:         52
        .size:           2
        .value_kind:     hidden_group_size_x
      - .offset:         54
        .size:           2
        .value_kind:     hidden_group_size_y
      - .offset:         56
        .size:           2
        .value_kind:     hidden_group_size_z
      - .offset:         58
        .size:           2
        .value_kind:     hidden_remainder_x
      - .offset:         60
        .size:           2
        .value_kind:     hidden_remainder_y
      - .offset:         62
        .size:           2
        .value_kind:     hidden_remainder_z
      - .offset:         80
        .size:           8
        .value_kind:     hidden_global_offset_x
      - .offset:         88
        .size:           8
        .value_kind:     hidden_global_offset_y
      - .offset:         96
        .size:           8
        .value_kind:     hidden_global_offset_z
      - .offset:         104
        .size:           2
        .value_kind:     hidden_grid_dims
    .group_segment_fixed_size: 16896
    .kernarg_segment_align: 8
    .kernarg_segment_size: 296
    .language:       OpenCL C
    .language_version:
      - 2
      - 0
    .max_flat_workgroup_size: 1024
    .name:           _ZN2at4cuda3cub17final_scan_kernelILi512ELi16EsEEvPKT1_PS3_S6_li
    .private_segment_fixed_size: 0
    .sgpr_count:     56
    .sgpr_spill_count: 0
    .symbol:         _ZN2at4cuda3cub17final_scan_kernelILi512ELi16EsEEvPKT1_PS3_S6_li.kd
    .uniform_work_group_size: 1
    .uses_dynamic_stack: false
    .vgpr_count:     75
    .vgpr_spill_count: 0
    .wavefront_size: 64
  - .agpr_count:     0
    .args:
      - .address_space:  global
        .offset:         0
        .size:           8
        .value_kind:     global_buffer
      - .offset:         8
        .size:           4
        .value_kind:     by_value
      - .offset:         12
        .size:           4
        .value_kind:     by_value
      - .address_space:  global
        .offset:         16
        .size:           8
        .value_kind:     global_buffer
      - .offset:         24
        .size:           4
        .value_kind:     hidden_block_count_x
      - .offset:         28
        .size:           4
        .value_kind:     hidden_block_count_y
      - .offset:         32
        .size:           4
        .value_kind:     hidden_block_count_z
      - .offset:         36
        .size:           2
        .value_kind:     hidden_group_size_x
      - .offset:         38
        .size:           2
        .value_kind:     hidden_group_size_y
      - .offset:         40
        .size:           2
        .value_kind:     hidden_group_size_z
      - .offset:         42
        .size:           2
        .value_kind:     hidden_remainder_x
      - .offset:         44
        .size:           2
        .value_kind:     hidden_remainder_y
      - .offset:         46
        .size:           2
        .value_kind:     hidden_remainder_z
      - .offset:         64
        .size:           8
        .value_kind:     hidden_global_offset_x
      - .offset:         72
        .size:           8
        .value_kind:     hidden_global_offset_y
      - .offset:         80
        .size:           8
        .value_kind:     hidden_global_offset_z
      - .offset:         88
        .size:           2
        .value_kind:     hidden_grid_dims
    .group_segment_fixed_size: 0
    .kernarg_segment_align: 8
    .kernarg_segment_size: 280
    .language:       OpenCL C
    .language_version:
      - 2
      - 0
    .max_flat_workgroup_size: 256
    .name:           _ZN7rocprim17ROCPRIM_304000_NS6detail31init_lookback_scan_state_kernelINS1_19lookback_scan_stateIsLb1ELb1EEEEEvT_jjPNS5_10value_typeE
    .private_segment_fixed_size: 0
    .sgpr_count:     18
    .sgpr_spill_count: 0
    .symbol:         _ZN7rocprim17ROCPRIM_304000_NS6detail31init_lookback_scan_state_kernelINS1_19lookback_scan_stateIsLb1ELb1EEEEEvT_jjPNS5_10value_typeE.kd
    .uniform_work_group_size: 1
    .uses_dynamic_stack: false
    .vgpr_count:     6
    .vgpr_spill_count: 0
    .wavefront_size: 64
  - .agpr_count:     0
    .args:
      - .address_space:  global
        .offset:         0
        .size:           8
        .value_kind:     global_buffer
      - .offset:         8
        .size:           4
        .value_kind:     by_value
      - .offset:         12
        .size:           4
        .value_kind:     by_value
      - .address_space:  global
        .offset:         16
        .size:           8
        .value_kind:     global_buffer
      - .offset:         24
        .size:           4
        .value_kind:     hidden_block_count_x
      - .offset:         28
        .size:           4
        .value_kind:     hidden_block_count_y
      - .offset:         32
        .size:           4
        .value_kind:     hidden_block_count_z
      - .offset:         36
        .size:           2
        .value_kind:     hidden_group_size_x
      - .offset:         38
        .size:           2
        .value_kind:     hidden_group_size_y
      - .offset:         40
        .size:           2
        .value_kind:     hidden_group_size_z
      - .offset:         42
        .size:           2
        .value_kind:     hidden_remainder_x
      - .offset:         44
        .size:           2
        .value_kind:     hidden_remainder_y
      - .offset:         46
        .size:           2
        .value_kind:     hidden_remainder_z
      - .offset:         64
        .size:           8
        .value_kind:     hidden_global_offset_x
      - .offset:         72
        .size:           8
        .value_kind:     hidden_global_offset_y
      - .offset:         80
        .size:           8
        .value_kind:     hidden_global_offset_z
      - .offset:         88
        .size:           2
        .value_kind:     hidden_grid_dims
    .group_segment_fixed_size: 0
    .kernarg_segment_align: 8
    .kernarg_segment_size: 280
    .language:       OpenCL C
    .language_version:
      - 2
      - 0
    .max_flat_workgroup_size: 256
    .name:           _ZN7rocprim17ROCPRIM_304000_NS6detail31init_lookback_scan_state_kernelINS1_19lookback_scan_stateIsLb0ELb1EEEEEvT_jjPNS5_10value_typeE
    .private_segment_fixed_size: 0
    .sgpr_count:     16
    .sgpr_spill_count: 0
    .symbol:         _ZN7rocprim17ROCPRIM_304000_NS6detail31init_lookback_scan_state_kernelINS1_19lookback_scan_stateIsLb0ELb1EEEEEvT_jjPNS5_10value_typeE.kd
    .uniform_work_group_size: 1
    .uses_dynamic_stack: false
    .vgpr_count:     6
    .vgpr_spill_count: 0
    .wavefront_size: 64
  - .agpr_count:     0
    .args:
      - .address_space:  global
        .offset:         0
        .size:           8
        .value_kind:     global_buffer
      - .address_space:  global
        .offset:         8
        .size:           8
        .value_kind:     global_buffer
      - .offset:         16
        .size:           8
        .value_kind:     by_value
      - .offset:         24
        .size:           2
        .value_kind:     by_value
      - .offset:         26
        .size:           1
        .value_kind:     by_value
      - .address_space:  global
        .offset:         32
        .size:           8
        .value_kind:     global_buffer
      - .offset:         40
        .size:           4
        .value_kind:     by_value
      - .address_space:  global
        .offset:         48
        .size:           8
        .value_kind:     global_buffer
      - .address_space:  global
        .offset:         56
        .size:           8
        .value_kind:     global_buffer
      - .offset:         64
        .size:           1
        .value_kind:     by_value
      - .offset:         65
        .size:           1
        .value_kind:     by_value
    .group_segment_fixed_size: 0
    .kernarg_segment_align: 8
    .kernarg_segment_size: 68
    .language:       OpenCL C
    .language_version:
      - 2
      - 0
    .max_flat_workgroup_size: 256
    .name:           _ZN7rocprim17ROCPRIM_304000_NS6detail20lookback_scan_kernelILNS1_25lookback_scan_determinismE0ELb0ENS1_19wrapped_scan_configINS0_14default_configEsEEPKsPsSt4plusIsEssNS1_19lookback_scan_stateIsLb1ELb1EEEEEvT2_T3_mT5_T4_T7_jPT6_SK_bb
    .private_segment_fixed_size: 0
    .sgpr_count:     6
    .sgpr_spill_count: 0
    .symbol:         _ZN7rocprim17ROCPRIM_304000_NS6detail20lookback_scan_kernelILNS1_25lookback_scan_determinismE0ELb0ENS1_19wrapped_scan_configINS0_14default_configEsEEPKsPsSt4plusIsEssNS1_19lookback_scan_stateIsLb1ELb1EEEEEvT2_T3_mT5_T4_T7_jPT6_SK_bb.kd
    .uniform_work_group_size: 1
    .uses_dynamic_stack: false
    .vgpr_count:     0
    .vgpr_spill_count: 0
    .wavefront_size: 64
  - .agpr_count:     0
    .args:
      - .address_space:  global
        .offset:         0
        .size:           8
        .value_kind:     global_buffer
      - .address_space:  global
        .offset:         8
        .size:           8
        .value_kind:     global_buffer
      - .offset:         16
        .size:           8
        .value_kind:     by_value
      - .offset:         24
        .size:           2
        .value_kind:     by_value
      - .offset:         26
        .size:           1
        .value_kind:     by_value
      - .address_space:  global
        .offset:         32
        .size:           8
        .value_kind:     global_buffer
      - .offset:         40
        .size:           4
        .value_kind:     by_value
      - .address_space:  global
        .offset:         48
        .size:           8
        .value_kind:     global_buffer
      - .address_space:  global
        .offset:         56
        .size:           8
        .value_kind:     global_buffer
      - .offset:         64
        .size:           1
        .value_kind:     by_value
      - .offset:         65
        .size:           1
        .value_kind:     by_value
    .group_segment_fixed_size: 12288
    .kernarg_segment_align: 8
    .kernarg_segment_size: 68
    .language:       OpenCL C
    .language_version:
      - 2
      - 0
    .max_flat_workgroup_size: 256
    .name:           _ZN7rocprim17ROCPRIM_304000_NS6detail20lookback_scan_kernelILNS1_25lookback_scan_determinismE0ELb0ENS1_19wrapped_scan_configINS0_14default_configEsEEPKsPsSt4plusIsEssNS1_19lookback_scan_stateIsLb0ELb1EEEEEvT2_T3_mT5_T4_T7_jPT6_SK_bb
    .private_segment_fixed_size: 0
    .sgpr_count:     32
    .sgpr_spill_count: 0
    .symbol:         _ZN7rocprim17ROCPRIM_304000_NS6detail20lookback_scan_kernelILNS1_25lookback_scan_determinismE0ELb0ENS1_19wrapped_scan_configINS0_14default_configEsEEPKsPsSt4plusIsEssNS1_19lookback_scan_stateIsLb0ELb1EEEEEvT2_T3_mT5_T4_T7_jPT6_SK_bb.kd
    .uniform_work_group_size: 1
    .uses_dynamic_stack: false
    .vgpr_count:     55
    .vgpr_spill_count: 0
    .wavefront_size: 64
  - .agpr_count:     0
    .args:
      - .address_space:  global
        .offset:         0
        .size:           8
        .value_kind:     global_buffer
      - .offset:         8
        .size:           8
        .value_kind:     by_value
      - .address_space:  global
        .offset:         16
        .size:           8
        .value_kind:     global_buffer
      - .offset:         24
        .size:           1
        .value_kind:     by_value
      - .offset:         32
        .size:           4
        .value_kind:     hidden_block_count_x
      - .offset:         36
        .size:           4
        .value_kind:     hidden_block_count_y
      - .offset:         40
        .size:           4
        .value_kind:     hidden_block_count_z
      - .offset:         44
        .size:           2
        .value_kind:     hidden_group_size_x
      - .offset:         46
        .size:           2
        .value_kind:     hidden_group_size_y
      - .offset:         48
        .size:           2
        .value_kind:     hidden_group_size_z
      - .offset:         50
        .size:           2
        .value_kind:     hidden_remainder_x
      - .offset:         52
        .size:           2
        .value_kind:     hidden_remainder_y
      - .offset:         54
        .size:           2
        .value_kind:     hidden_remainder_z
      - .offset:         72
        .size:           8
        .value_kind:     hidden_global_offset_x
      - .offset:         80
        .size:           8
        .value_kind:     hidden_global_offset_y
      - .offset:         88
        .size:           8
        .value_kind:     hidden_global_offset_z
      - .offset:         96
        .size:           2
        .value_kind:     hidden_grid_dims
    .group_segment_fixed_size: 0
    .kernarg_segment_align: 8
    .kernarg_segment_size: 288
    .language:       OpenCL C
    .language_version:
      - 2
      - 0
    .max_flat_workgroup_size: 256
    .name:           _ZN7rocprim17ROCPRIM_304000_NS6detail16transform_kernelINS1_24wrapped_transform_configINS0_14default_configEsEEsPsS6_NS0_8identityIsEEEEvT1_mT2_T3_
    .private_segment_fixed_size: 0
    .sgpr_count:     29
    .sgpr_spill_count: 0
    .symbol:         _ZN7rocprim17ROCPRIM_304000_NS6detail16transform_kernelINS1_24wrapped_transform_configINS0_14default_configEsEEsPsS6_NS0_8identityIsEEEEvT1_mT2_T3_.kd
    .uniform_work_group_size: 1
    .uses_dynamic_stack: false
    .vgpr_count:     12
    .vgpr_spill_count: 0
    .wavefront_size: 64
  - .agpr_count:     0
    .args:
      - .address_space:  global
        .offset:         0
        .size:           8
        .value_kind:     global_buffer
      - .offset:         8
        .size:           8
        .value_kind:     by_value
      - .offset:         16
        .size:           2
        .value_kind:     by_value
      - .address_space:  global
        .offset:         24
        .size:           8
        .value_kind:     global_buffer
      - .offset:         32
        .size:           1
        .value_kind:     by_value
    .group_segment_fixed_size: 12288
    .kernarg_segment_align: 8
    .kernarg_segment_size: 36
    .language:       OpenCL C
    .language_version:
      - 2
      - 0
    .max_flat_workgroup_size: 256
    .name:           _ZN7rocprim17ROCPRIM_304000_NS6detail18single_scan_kernelILb0ENS1_19wrapped_scan_configINS0_14default_configEsEEPKsPsSt4plusIsEssEEvT1_mT4_T2_T3_
    .private_segment_fixed_size: 0
    .sgpr_count:     60
    .sgpr_spill_count: 0
    .symbol:         _ZN7rocprim17ROCPRIM_304000_NS6detail18single_scan_kernelILb0ENS1_19wrapped_scan_configINS0_14default_configEsEEPKsPsSt4plusIsEssEEvT1_mT4_T2_T3_.kd
    .uniform_work_group_size: 1
    .uses_dynamic_stack: false
    .vgpr_count:     30
    .vgpr_spill_count: 0
    .wavefront_size: 64
  - .agpr_count:     0
    .args:
      - .address_space:  global
        .offset:         0
        .size:           8
        .value_kind:     global_buffer
      - .address_space:  global
        .offset:         8
        .size:           8
        .value_kind:     global_buffer
      - .offset:         16
        .size:           4
        .value_kind:     by_value
      - .offset:         20
        .size:           4
        .value_kind:     by_value
      - .offset:         24
        .size:           4
        .value_kind:     by_value
      - .offset:         28
        .size:           2
        .value_kind:     by_value
      - .offset:         30
        .size:           1
        .value_kind:     by_value
      - .offset:         32
        .size:           4
        .value_kind:     hidden_block_count_x
      - .offset:         36
        .size:           4
        .value_kind:     hidden_block_count_y
      - .offset:         40
        .size:           4
        .value_kind:     hidden_block_count_z
      - .offset:         44
        .size:           2
        .value_kind:     hidden_group_size_x
      - .offset:         46
        .size:           2
        .value_kind:     hidden_group_size_y
      - .offset:         48
        .size:           2
        .value_kind:     hidden_group_size_z
      - .offset:         50
        .size:           2
        .value_kind:     hidden_remainder_x
      - .offset:         52
        .size:           2
        .value_kind:     hidden_remainder_y
      - .offset:         54
        .size:           2
        .value_kind:     hidden_remainder_z
      - .offset:         72
        .size:           8
        .value_kind:     hidden_global_offset_x
      - .offset:         80
        .size:           8
        .value_kind:     hidden_global_offset_y
      - .offset:         88
        .size:           8
        .value_kind:     hidden_global_offset_z
      - .offset:         96
        .size:           2
        .value_kind:     hidden_grid_dims
      - .offset:         152
        .size:           4
        .value_kind:     hidden_dynamic_lds_size
    .group_segment_fixed_size: 0
    .kernarg_segment_align: 8
    .kernarg_segment_size: 288
    .language:       OpenCL C
    .language_version:
      - 2
      - 0
    .max_flat_workgroup_size: 1024
    .name:           _ZN2at6native32tensor_kernel_scan_innermost_dimIsSt4plusIsEEEvPT_PKS4_jjjS4_T0_
    .private_segment_fixed_size: 0
    .sgpr_count:     40
    .sgpr_spill_count: 0
    .symbol:         _ZN2at6native32tensor_kernel_scan_innermost_dimIsSt4plusIsEEEvPT_PKS4_jjjS4_T0_.kd
    .uniform_work_group_size: 1
    .uses_dynamic_stack: false
    .vgpr_count:     24
    .vgpr_spill_count: 0
    .wavefront_size: 64
  - .agpr_count:     0
    .args:
      - .address_space:  global
        .offset:         0
        .size:           8
        .value_kind:     global_buffer
      - .address_space:  global
        .offset:         8
        .size:           8
        .value_kind:     global_buffer
      - .offset:         16
        .size:           4
        .value_kind:     by_value
      - .offset:         20
        .size:           4
        .value_kind:     by_value
      - .offset:         24
        .size:           4
        .value_kind:     by_value
      - .offset:         28
        .size:           2
        .value_kind:     by_value
      - .offset:         30
        .size:           1
        .value_kind:     by_value
      - .offset:         32
        .size:           4
        .value_kind:     hidden_block_count_x
      - .offset:         36
        .size:           4
        .value_kind:     hidden_block_count_y
      - .offset:         40
        .size:           4
        .value_kind:     hidden_block_count_z
      - .offset:         44
        .size:           2
        .value_kind:     hidden_group_size_x
      - .offset:         46
        .size:           2
        .value_kind:     hidden_group_size_y
      - .offset:         48
        .size:           2
        .value_kind:     hidden_group_size_z
      - .offset:         50
        .size:           2
        .value_kind:     hidden_remainder_x
      - .offset:         52
        .size:           2
        .value_kind:     hidden_remainder_y
      - .offset:         54
        .size:           2
        .value_kind:     hidden_remainder_z
      - .offset:         72
        .size:           8
        .value_kind:     hidden_global_offset_x
      - .offset:         80
        .size:           8
        .value_kind:     hidden_global_offset_y
      - .offset:         88
        .size:           8
        .value_kind:     hidden_global_offset_z
      - .offset:         96
        .size:           2
        .value_kind:     hidden_grid_dims
    .group_segment_fixed_size: 0
    .kernarg_segment_align: 8
    .kernarg_segment_size: 288
    .language:       OpenCL C
    .language_version:
      - 2
      - 0
    .max_flat_workgroup_size: 1024
    .name:           _ZN2at6native28tensor_kernel_scan_outer_dimIsjSt4plusIsEEEvPT_PKS4_jjjS4_T1_
    .private_segment_fixed_size: 0
    .sgpr_count:     36
    .sgpr_spill_count: 0
    .symbol:         _ZN2at6native28tensor_kernel_scan_outer_dimIsjSt4plusIsEEEvPT_PKS4_jjjS4_T1_.kd
    .uniform_work_group_size: 1
    .uses_dynamic_stack: false
    .vgpr_count:     9
    .vgpr_spill_count: 0
    .wavefront_size: 64
  - .agpr_count:     0
    .args:
      - .address_space:  global
        .offset:         0
        .size:           8
        .value_kind:     global_buffer
      - .address_space:  global
        .offset:         8
        .size:           8
        .value_kind:     global_buffer
      - .offset:         16
        .size:           4
        .value_kind:     by_value
      - .offset:         20
        .size:           4
        .value_kind:     by_value
      - .offset:         24
        .size:           4
        .value_kind:     by_value
      - .offset:         28
        .size:           2
        .value_kind:     by_value
      - .offset:         30
        .size:           1
        .value_kind:     by_value
      - .offset:         32
        .size:           4
        .value_kind:     hidden_block_count_x
      - .offset:         36
        .size:           4
        .value_kind:     hidden_block_count_y
      - .offset:         40
        .size:           4
        .value_kind:     hidden_block_count_z
      - .offset:         44
        .size:           2
        .value_kind:     hidden_group_size_x
      - .offset:         46
        .size:           2
        .value_kind:     hidden_group_size_y
      - .offset:         48
        .size:           2
        .value_kind:     hidden_group_size_z
      - .offset:         50
        .size:           2
        .value_kind:     hidden_remainder_x
      - .offset:         52
        .size:           2
        .value_kind:     hidden_remainder_y
      - .offset:         54
        .size:           2
        .value_kind:     hidden_remainder_z
      - .offset:         72
        .size:           8
        .value_kind:     hidden_global_offset_x
      - .offset:         80
        .size:           8
        .value_kind:     hidden_global_offset_y
      - .offset:         88
        .size:           8
        .value_kind:     hidden_global_offset_z
      - .offset:         96
        .size:           2
        .value_kind:     hidden_grid_dims
    .group_segment_fixed_size: 0
    .kernarg_segment_align: 8
    .kernarg_segment_size: 288
    .language:       OpenCL C
    .language_version:
      - 2
      - 0
    .max_flat_workgroup_size: 1024
    .name:           _ZN2at6native28tensor_kernel_scan_outer_dimIsmSt4plusIsEEEvPT_PKS4_jjjS4_T1_
    .private_segment_fixed_size: 0
    .sgpr_count:     35
    .sgpr_spill_count: 0
    .symbol:         _ZN2at6native28tensor_kernel_scan_outer_dimIsmSt4plusIsEEEvPT_PKS4_jjjS4_T1_.kd
    .uniform_work_group_size: 1
    .uses_dynamic_stack: false
    .vgpr_count:     9
    .vgpr_spill_count: 0
    .wavefront_size: 64
  - .agpr_count:     0
    .args:
      - .address_space:  global
        .offset:         0
        .size:           8
        .value_kind:     global_buffer
      - .address_space:  global
        .offset:         8
        .size:           8
        .value_kind:     global_buffer
      - .offset:         16
        .size:           8
        .value_kind:     by_value
      - .offset:         24
        .size:           4
        .value_kind:     by_value
    .group_segment_fixed_size: 32
    .kernarg_segment_align: 8
    .kernarg_segment_size: 28
    .language:       OpenCL C
    .language_version:
      - 2
      - 0
    .max_flat_workgroup_size: 1024
    .name:           _ZN2at4cuda3cub15calc_block_sumsILi256ELi16ELb0EddEEvPKT2_PT3_li
    .private_segment_fixed_size: 0
    .sgpr_count:     74
    .sgpr_spill_count: 0
    .symbol:         _ZN2at4cuda3cub15calc_block_sumsILi256ELi16ELb0EddEEvPKT2_PT3_li.kd
    .uniform_work_group_size: 1
    .uses_dynamic_stack: false
    .vgpr_count:     61
    .vgpr_spill_count: 0
    .wavefront_size: 64
  - .agpr_count:     0
    .args:
      - .address_space:  global
        .offset:         0
        .size:           8
        .value_kind:     global_buffer
      - .address_space:  global
        .offset:         8
        .size:           8
        .value_kind:     global_buffer
      - .address_space:  global
        .offset:         16
        .size:           8
        .value_kind:     global_buffer
      - .offset:         24
        .size:           8
        .value_kind:     by_value
      - .offset:         32
        .size:           4
        .value_kind:     by_value
      - .offset:         40
        .size:           4
        .value_kind:     hidden_block_count_x
      - .offset:         44
        .size:           4
        .value_kind:     hidden_block_count_y
      - .offset:         48
        .size:           4
        .value_kind:     hidden_block_count_z
      - .offset:         52
        .size:           2
        .value_kind:     hidden_group_size_x
      - .offset:         54
        .size:           2
        .value_kind:     hidden_group_size_y
      - .offset:         56
        .size:           2
        .value_kind:     hidden_group_size_z
      - .offset:         58
        .size:           2
        .value_kind:     hidden_remainder_x
      - .offset:         60
        .size:           2
        .value_kind:     hidden_remainder_y
      - .offset:         62
        .size:           2
        .value_kind:     hidden_remainder_z
      - .offset:         80
        .size:           8
        .value_kind:     hidden_global_offset_x
      - .offset:         88
        .size:           8
        .value_kind:     hidden_global_offset_y
      - .offset:         96
        .size:           8
        .value_kind:     hidden_global_offset_z
      - .offset:         104
        .size:           2
        .value_kind:     hidden_grid_dims
    .group_segment_fixed_size: 33792
    .kernarg_segment_align: 8
    .kernarg_segment_size: 296
    .language:       OpenCL C
    .language_version:
      - 2
      - 0
    .max_flat_workgroup_size: 1024
    .name:           _ZN2at4cuda3cub17final_scan_kernelILi256ELi16EdEEvPKT1_PS3_S6_li
    .private_segment_fixed_size: 0
    .sgpr_count:     76
    .sgpr_spill_count: 0
    .symbol:         _ZN2at4cuda3cub17final_scan_kernelILi256ELi16EdEEvPKT1_PS3_S6_li.kd
    .uniform_work_group_size: 1
    .uses_dynamic_stack: false
    .vgpr_count:     117
    .vgpr_spill_count: 0
    .wavefront_size: 64
  - .agpr_count:     0
    .args:
      - .address_space:  global
        .offset:         0
        .size:           8
        .value_kind:     global_buffer
      - .offset:         8
        .size:           4
        .value_kind:     by_value
      - .offset:         12
        .size:           4
        .value_kind:     by_value
      - .address_space:  global
        .offset:         16
        .size:           8
        .value_kind:     global_buffer
      - .offset:         24
        .size:           4
        .value_kind:     hidden_block_count_x
      - .offset:         28
        .size:           4
        .value_kind:     hidden_block_count_y
      - .offset:         32
        .size:           4
        .value_kind:     hidden_block_count_z
      - .offset:         36
        .size:           2
        .value_kind:     hidden_group_size_x
      - .offset:         38
        .size:           2
        .value_kind:     hidden_group_size_y
      - .offset:         40
        .size:           2
        .value_kind:     hidden_group_size_z
      - .offset:         42
        .size:           2
        .value_kind:     hidden_remainder_x
      - .offset:         44
        .size:           2
        .value_kind:     hidden_remainder_y
      - .offset:         46
        .size:           2
        .value_kind:     hidden_remainder_z
      - .offset:         64
        .size:           8
        .value_kind:     hidden_global_offset_x
      - .offset:         72
        .size:           8
        .value_kind:     hidden_global_offset_y
      - .offset:         80
        .size:           8
        .value_kind:     hidden_global_offset_z
      - .offset:         88
        .size:           2
        .value_kind:     hidden_grid_dims
    .group_segment_fixed_size: 0
    .kernarg_segment_align: 8
    .kernarg_segment_size: 280
    .language:       OpenCL C
    .language_version:
      - 2
      - 0
    .max_flat_workgroup_size: 256
    .name:           _ZN7rocprim17ROCPRIM_304000_NS6detail31init_lookback_scan_state_kernelINS1_19lookback_scan_stateIdLb1ELb1EEEEEvT_jjPNS5_10value_typeE
    .private_segment_fixed_size: 0
    .sgpr_count:     20
    .sgpr_spill_count: 0
    .symbol:         _ZN7rocprim17ROCPRIM_304000_NS6detail31init_lookback_scan_state_kernelINS1_19lookback_scan_stateIdLb1ELb1EEEEEvT_jjPNS5_10value_typeE.kd
    .uniform_work_group_size: 1
    .uses_dynamic_stack: false
    .vgpr_count:     10
    .vgpr_spill_count: 0
    .wavefront_size: 64
  - .agpr_count:     0
    .args:
      - .address_space:  global
        .offset:         0
        .size:           8
        .value_kind:     global_buffer
      - .offset:         8
        .size:           4
        .value_kind:     by_value
      - .offset:         12
        .size:           4
        .value_kind:     by_value
      - .address_space:  global
        .offset:         16
        .size:           8
        .value_kind:     global_buffer
      - .offset:         24
        .size:           4
        .value_kind:     hidden_block_count_x
      - .offset:         28
        .size:           4
        .value_kind:     hidden_block_count_y
      - .offset:         32
        .size:           4
        .value_kind:     hidden_block_count_z
      - .offset:         36
        .size:           2
        .value_kind:     hidden_group_size_x
      - .offset:         38
        .size:           2
        .value_kind:     hidden_group_size_y
      - .offset:         40
        .size:           2
        .value_kind:     hidden_group_size_z
      - .offset:         42
        .size:           2
        .value_kind:     hidden_remainder_x
      - .offset:         44
        .size:           2
        .value_kind:     hidden_remainder_y
      - .offset:         46
        .size:           2
        .value_kind:     hidden_remainder_z
      - .offset:         64
        .size:           8
        .value_kind:     hidden_global_offset_x
      - .offset:         72
        .size:           8
        .value_kind:     hidden_global_offset_y
      - .offset:         80
        .size:           8
        .value_kind:     hidden_global_offset_z
      - .offset:         88
        .size:           2
        .value_kind:     hidden_grid_dims
    .group_segment_fixed_size: 0
    .kernarg_segment_align: 8
    .kernarg_segment_size: 280
    .language:       OpenCL C
    .language_version:
      - 2
      - 0
    .max_flat_workgroup_size: 256
    .name:           _ZN7rocprim17ROCPRIM_304000_NS6detail31init_lookback_scan_state_kernelINS1_19lookback_scan_stateIdLb0ELb1EEEEEvT_jjPNS5_10value_typeE
    .private_segment_fixed_size: 0
    .sgpr_count:     20
    .sgpr_spill_count: 0
    .symbol:         _ZN7rocprim17ROCPRIM_304000_NS6detail31init_lookback_scan_state_kernelINS1_19lookback_scan_stateIdLb0ELb1EEEEEvT_jjPNS5_10value_typeE.kd
    .uniform_work_group_size: 1
    .uses_dynamic_stack: false
    .vgpr_count:     10
    .vgpr_spill_count: 0
    .wavefront_size: 64
  - .agpr_count:     0
    .args:
      - .address_space:  global
        .offset:         0
        .size:           8
        .value_kind:     global_buffer
      - .address_space:  global
        .offset:         8
        .size:           8
        .value_kind:     global_buffer
      - .offset:         16
        .size:           8
        .value_kind:     by_value
      - .offset:         24
        .size:           8
        .value_kind:     by_value
      - .offset:         32
        .size:           1
        .value_kind:     by_value
      - .address_space:  global
        .offset:         40
        .size:           8
        .value_kind:     global_buffer
      - .offset:         48
        .size:           4
        .value_kind:     by_value
      - .address_space:  global
        .offset:         56
        .size:           8
        .value_kind:     global_buffer
      - .address_space:  global
        .offset:         64
        .size:           8
        .value_kind:     global_buffer
      - .offset:         72
        .size:           1
        .value_kind:     by_value
      - .offset:         73
        .size:           1
        .value_kind:     by_value
    .group_segment_fixed_size: 0
    .kernarg_segment_align: 8
    .kernarg_segment_size: 76
    .language:       OpenCL C
    .language_version:
      - 2
      - 0
    .max_flat_workgroup_size: 256
    .name:           _ZN7rocprim17ROCPRIM_304000_NS6detail20lookback_scan_kernelILNS1_25lookback_scan_determinismE0ELb0ENS1_19wrapped_scan_configINS0_14default_configEdEEPKdPdSt4plusIdEddNS1_19lookback_scan_stateIdLb1ELb1EEEEEvT2_T3_mT5_T4_T7_jPT6_SK_bb
    .private_segment_fixed_size: 0
    .sgpr_count:     6
    .sgpr_spill_count: 0
    .symbol:         _ZN7rocprim17ROCPRIM_304000_NS6detail20lookback_scan_kernelILNS1_25lookback_scan_determinismE0ELb0ENS1_19wrapped_scan_configINS0_14default_configEdEEPKdPdSt4plusIdEddNS1_19lookback_scan_stateIdLb1ELb1EEEEEvT2_T3_mT5_T4_T7_jPT6_SK_bb.kd
    .uniform_work_group_size: 1
    .uses_dynamic_stack: false
    .vgpr_count:     0
    .vgpr_spill_count: 0
    .wavefront_size: 64
  - .agpr_count:     0
    .args:
      - .address_space:  global
        .offset:         0
        .size:           8
        .value_kind:     global_buffer
      - .address_space:  global
        .offset:         8
        .size:           8
        .value_kind:     global_buffer
      - .offset:         16
        .size:           8
        .value_kind:     by_value
      - .offset:         24
        .size:           8
        .value_kind:     by_value
      - .offset:         32
        .size:           1
        .value_kind:     by_value
      - .address_space:  global
        .offset:         40
        .size:           8
        .value_kind:     global_buffer
      - .offset:         48
        .size:           4
        .value_kind:     by_value
      - .address_space:  global
        .offset:         56
        .size:           8
        .value_kind:     global_buffer
      - .address_space:  global
        .offset:         64
        .size:           8
        .value_kind:     global_buffer
      - .offset:         72
        .size:           1
        .value_kind:     by_value
      - .offset:         73
        .size:           1
        .value_kind:     by_value
    .group_segment_fixed_size: 30720
    .kernarg_segment_align: 8
    .kernarg_segment_size: 76
    .language:       OpenCL C
    .language_version:
      - 2
      - 0
    .max_flat_workgroup_size: 256
    .name:           _ZN7rocprim17ROCPRIM_304000_NS6detail20lookback_scan_kernelILNS1_25lookback_scan_determinismE0ELb0ENS1_19wrapped_scan_configINS0_14default_configEdEEPKdPdSt4plusIdEddNS1_19lookback_scan_stateIdLb0ELb1EEEEEvT2_T3_mT5_T4_T7_jPT6_SK_bb
    .private_segment_fixed_size: 0
    .sgpr_count:     74
    .sgpr_spill_count: 0
    .symbol:         _ZN7rocprim17ROCPRIM_304000_NS6detail20lookback_scan_kernelILNS1_25lookback_scan_determinismE0ELb0ENS1_19wrapped_scan_configINS0_14default_configEdEEPKdPdSt4plusIdEddNS1_19lookback_scan_stateIdLb0ELb1EEEEEvT2_T3_mT5_T4_T7_jPT6_SK_bb.kd
    .uniform_work_group_size: 1
    .uses_dynamic_stack: false
    .vgpr_count:     67
    .vgpr_spill_count: 0
    .wavefront_size: 64
  - .agpr_count:     0
    .args:
      - .address_space:  global
        .offset:         0
        .size:           8
        .value_kind:     global_buffer
      - .offset:         8
        .size:           8
        .value_kind:     by_value
      - .address_space:  global
        .offset:         16
        .size:           8
        .value_kind:     global_buffer
      - .offset:         24
        .size:           1
        .value_kind:     by_value
      - .offset:         32
        .size:           4
        .value_kind:     hidden_block_count_x
      - .offset:         36
        .size:           4
        .value_kind:     hidden_block_count_y
      - .offset:         40
        .size:           4
        .value_kind:     hidden_block_count_z
      - .offset:         44
        .size:           2
        .value_kind:     hidden_group_size_x
      - .offset:         46
        .size:           2
        .value_kind:     hidden_group_size_y
      - .offset:         48
        .size:           2
        .value_kind:     hidden_group_size_z
      - .offset:         50
        .size:           2
        .value_kind:     hidden_remainder_x
      - .offset:         52
        .size:           2
        .value_kind:     hidden_remainder_y
      - .offset:         54
        .size:           2
        .value_kind:     hidden_remainder_z
      - .offset:         72
        .size:           8
        .value_kind:     hidden_global_offset_x
      - .offset:         80
        .size:           8
        .value_kind:     hidden_global_offset_y
      - .offset:         88
        .size:           8
        .value_kind:     hidden_global_offset_z
      - .offset:         96
        .size:           2
        .value_kind:     hidden_grid_dims
    .group_segment_fixed_size: 0
    .kernarg_segment_align: 8
    .kernarg_segment_size: 288
    .language:       OpenCL C
    .language_version:
      - 2
      - 0
    .max_flat_workgroup_size: 1024
    .name:           _ZN7rocprim17ROCPRIM_304000_NS6detail16transform_kernelINS1_24wrapped_transform_configINS0_14default_configEdEEdPdS6_NS0_8identityIdEEEEvT1_mT2_T3_
    .private_segment_fixed_size: 0
    .sgpr_count:     20
    .sgpr_spill_count: 0
    .symbol:         _ZN7rocprim17ROCPRIM_304000_NS6detail16transform_kernelINS1_24wrapped_transform_configINS0_14default_configEdEEdPdS6_NS0_8identityIdEEEEvT1_mT2_T3_.kd
    .uniform_work_group_size: 1
    .uses_dynamic_stack: false
    .vgpr_count:     18
    .vgpr_spill_count: 0
    .wavefront_size: 64
  - .agpr_count:     0
    .args:
      - .address_space:  global
        .offset:         0
        .size:           8
        .value_kind:     global_buffer
      - .offset:         8
        .size:           8
        .value_kind:     by_value
      - .offset:         16
        .size:           8
        .value_kind:     by_value
      - .address_space:  global
        .offset:         24
        .size:           8
        .value_kind:     global_buffer
      - .offset:         32
        .size:           1
        .value_kind:     by_value
    .group_segment_fixed_size: 30720
    .kernarg_segment_align: 8
    .kernarg_segment_size: 36
    .language:       OpenCL C
    .language_version:
      - 2
      - 0
    .max_flat_workgroup_size: 256
    .name:           _ZN7rocprim17ROCPRIM_304000_NS6detail18single_scan_kernelILb0ENS1_19wrapped_scan_configINS0_14default_configEdEEPKdPdSt4plusIdEddEEvT1_mT4_T2_T3_
    .private_segment_fixed_size: 0
    .sgpr_count:     74
    .sgpr_spill_count: 0
    .symbol:         _ZN7rocprim17ROCPRIM_304000_NS6detail18single_scan_kernelILb0ENS1_19wrapped_scan_configINS0_14default_configEdEEPKdPdSt4plusIdEddEEvT1_mT4_T2_T3_.kd
    .uniform_work_group_size: 1
    .uses_dynamic_stack: false
    .vgpr_count:     50
    .vgpr_spill_count: 0
    .wavefront_size: 64
  - .agpr_count:     0
    .args:
      - .address_space:  global
        .offset:         0
        .size:           8
        .value_kind:     global_buffer
      - .address_space:  global
        .offset:         8
        .size:           8
        .value_kind:     global_buffer
      - .offset:         16
        .size:           4
        .value_kind:     by_value
      - .offset:         20
        .size:           4
        .value_kind:     by_value
      - .offset:         24
        .size:           4
        .value_kind:     by_value
      - .offset:         32
        .size:           8
        .value_kind:     by_value
      - .offset:         40
        .size:           1
        .value_kind:     by_value
      - .offset:         48
        .size:           4
        .value_kind:     hidden_block_count_x
      - .offset:         52
        .size:           4
        .value_kind:     hidden_block_count_y
      - .offset:         56
        .size:           4
        .value_kind:     hidden_block_count_z
      - .offset:         60
        .size:           2
        .value_kind:     hidden_group_size_x
      - .offset:         62
        .size:           2
        .value_kind:     hidden_group_size_y
      - .offset:         64
        .size:           2
        .value_kind:     hidden_group_size_z
      - .offset:         66
        .size:           2
        .value_kind:     hidden_remainder_x
      - .offset:         68
        .size:           2
        .value_kind:     hidden_remainder_y
      - .offset:         70
        .size:           2
        .value_kind:     hidden_remainder_z
      - .offset:         88
        .size:           8
        .value_kind:     hidden_global_offset_x
      - .offset:         96
        .size:           8
        .value_kind:     hidden_global_offset_y
      - .offset:         104
        .size:           8
        .value_kind:     hidden_global_offset_z
      - .offset:         112
        .size:           2
        .value_kind:     hidden_grid_dims
      - .offset:         168
        .size:           4
        .value_kind:     hidden_dynamic_lds_size
    .group_segment_fixed_size: 0
    .kernarg_segment_align: 8
    .kernarg_segment_size: 304
    .language:       OpenCL C
    .language_version:
      - 2
      - 0
    .max_flat_workgroup_size: 1024
    .name:           _ZN2at6native32tensor_kernel_scan_innermost_dimIdSt4plusIdEEEvPT_PKS4_jjjS4_T0_
    .private_segment_fixed_size: 0
    .sgpr_count:     41
    .sgpr_spill_count: 0
    .symbol:         _ZN2at6native32tensor_kernel_scan_innermost_dimIdSt4plusIdEEEvPT_PKS4_jjjS4_T0_.kd
    .uniform_work_group_size: 1
    .uses_dynamic_stack: false
    .vgpr_count:     24
    .vgpr_spill_count: 0
    .wavefront_size: 64
  - .agpr_count:     0
    .args:
      - .address_space:  global
        .offset:         0
        .size:           8
        .value_kind:     global_buffer
      - .address_space:  global
        .offset:         8
        .size:           8
        .value_kind:     global_buffer
      - .offset:         16
        .size:           4
        .value_kind:     by_value
      - .offset:         20
        .size:           4
        .value_kind:     by_value
      - .offset:         24
        .size:           4
        .value_kind:     by_value
      - .offset:         32
        .size:           8
        .value_kind:     by_value
      - .offset:         40
        .size:           1
        .value_kind:     by_value
      - .offset:         48
        .size:           4
        .value_kind:     hidden_block_count_x
      - .offset:         52
        .size:           4
        .value_kind:     hidden_block_count_y
      - .offset:         56
        .size:           4
        .value_kind:     hidden_block_count_z
      - .offset:         60
        .size:           2
        .value_kind:     hidden_group_size_x
      - .offset:         62
        .size:           2
        .value_kind:     hidden_group_size_y
      - .offset:         64
        .size:           2
        .value_kind:     hidden_group_size_z
      - .offset:         66
        .size:           2
        .value_kind:     hidden_remainder_x
      - .offset:         68
        .size:           2
        .value_kind:     hidden_remainder_y
      - .offset:         70
        .size:           2
        .value_kind:     hidden_remainder_z
      - .offset:         88
        .size:           8
        .value_kind:     hidden_global_offset_x
      - .offset:         96
        .size:           8
        .value_kind:     hidden_global_offset_y
      - .offset:         104
        .size:           8
        .value_kind:     hidden_global_offset_z
      - .offset:         112
        .size:           2
        .value_kind:     hidden_grid_dims
    .group_segment_fixed_size: 0
    .kernarg_segment_align: 8
    .kernarg_segment_size: 304
    .language:       OpenCL C
    .language_version:
      - 2
      - 0
    .max_flat_workgroup_size: 1024
    .name:           _ZN2at6native28tensor_kernel_scan_outer_dimIdjSt4plusIdEEEvPT_PKS4_jjjS4_T1_
    .private_segment_fixed_size: 0
    .sgpr_count:     37
    .sgpr_spill_count: 0
    .symbol:         _ZN2at6native28tensor_kernel_scan_outer_dimIdjSt4plusIdEEEvPT_PKS4_jjjS4_T1_.kd
    .uniform_work_group_size: 1
    .uses_dynamic_stack: false
    .vgpr_count:     12
    .vgpr_spill_count: 0
    .wavefront_size: 64
  - .agpr_count:     0
    .args:
      - .address_space:  global
        .offset:         0
        .size:           8
        .value_kind:     global_buffer
      - .address_space:  global
        .offset:         8
        .size:           8
        .value_kind:     global_buffer
      - .offset:         16
        .size:           4
        .value_kind:     by_value
      - .offset:         20
        .size:           4
        .value_kind:     by_value
      - .offset:         24
        .size:           4
        .value_kind:     by_value
      - .offset:         32
        .size:           8
        .value_kind:     by_value
      - .offset:         40
        .size:           1
        .value_kind:     by_value
      - .offset:         48
        .size:           4
        .value_kind:     hidden_block_count_x
      - .offset:         52
        .size:           4
        .value_kind:     hidden_block_count_y
      - .offset:         56
        .size:           4
        .value_kind:     hidden_block_count_z
      - .offset:         60
        .size:           2
        .value_kind:     hidden_group_size_x
      - .offset:         62
        .size:           2
        .value_kind:     hidden_group_size_y
      - .offset:         64
        .size:           2
        .value_kind:     hidden_group_size_z
      - .offset:         66
        .size:           2
        .value_kind:     hidden_remainder_x
      - .offset:         68
        .size:           2
        .value_kind:     hidden_remainder_y
      - .offset:         70
        .size:           2
        .value_kind:     hidden_remainder_z
      - .offset:         88
        .size:           8
        .value_kind:     hidden_global_offset_x
      - .offset:         96
        .size:           8
        .value_kind:     hidden_global_offset_y
      - .offset:         104
        .size:           8
        .value_kind:     hidden_global_offset_z
      - .offset:         112
        .size:           2
        .value_kind:     hidden_grid_dims
    .group_segment_fixed_size: 0
    .kernarg_segment_align: 8
    .kernarg_segment_size: 304
    .language:       OpenCL C
    .language_version:
      - 2
      - 0
    .max_flat_workgroup_size: 1024
    .name:           _ZN2at6native28tensor_kernel_scan_outer_dimIdmSt4plusIdEEEvPT_PKS4_jjjS4_T1_
    .private_segment_fixed_size: 0
    .sgpr_count:     36
    .sgpr_spill_count: 0
    .symbol:         _ZN2at6native28tensor_kernel_scan_outer_dimIdmSt4plusIdEEEvPT_PKS4_jjjS4_T1_.kd
    .uniform_work_group_size: 1
    .uses_dynamic_stack: false
    .vgpr_count:     12
    .vgpr_spill_count: 0
    .wavefront_size: 64
  - .agpr_count:     0
    .args:
      - .address_space:  global
        .offset:         0
        .size:           8
        .value_kind:     global_buffer
      - .address_space:  global
        .offset:         8
        .size:           8
        .value_kind:     global_buffer
      - .offset:         16
        .size:           8
        .value_kind:     by_value
      - .offset:         24
        .size:           4
        .value_kind:     by_value
    .group_segment_fixed_size: 32
    .kernarg_segment_align: 8
    .kernarg_segment_size: 28
    .language:       OpenCL C
    .language_version:
      - 2
      - 0
    .max_flat_workgroup_size: 1024
    .name:           _ZN2at4cuda3cub15calc_block_sumsILi512ELi16ELb0EffEEvPKT2_PT3_li
    .private_segment_fixed_size: 0
    .sgpr_count:     37
    .sgpr_spill_count: 0
    .symbol:         _ZN2at4cuda3cub15calc_block_sumsILi512ELi16ELb0EffEEvPKT2_PT3_li.kd
    .uniform_work_group_size: 1
    .uses_dynamic_stack: false
    .vgpr_count:     47
    .vgpr_spill_count: 0
    .wavefront_size: 64
  - .agpr_count:     0
    .args:
      - .address_space:  global
        .offset:         0
        .size:           8
        .value_kind:     global_buffer
      - .address_space:  global
        .offset:         8
        .size:           8
        .value_kind:     global_buffer
      - .address_space:  global
        .offset:         16
        .size:           8
        .value_kind:     global_buffer
      - .offset:         24
        .size:           8
        .value_kind:     by_value
      - .offset:         32
        .size:           4
        .value_kind:     by_value
      - .offset:         40
        .size:           4
        .value_kind:     hidden_block_count_x
      - .offset:         44
        .size:           4
        .value_kind:     hidden_block_count_y
      - .offset:         48
        .size:           4
        .value_kind:     hidden_block_count_z
      - .offset:         52
        .size:           2
        .value_kind:     hidden_group_size_x
      - .offset:         54
        .size:           2
        .value_kind:     hidden_group_size_y
      - .offset:         56
        .size:           2
        .value_kind:     hidden_group_size_z
      - .offset:         58
        .size:           2
        .value_kind:     hidden_remainder_x
      - .offset:         60
        .size:           2
        .value_kind:     hidden_remainder_y
      - .offset:         62
        .size:           2
        .value_kind:     hidden_remainder_z
      - .offset:         80
        .size:           8
        .value_kind:     hidden_global_offset_x
      - .offset:         88
        .size:           8
        .value_kind:     hidden_global_offset_y
      - .offset:         96
        .size:           8
        .value_kind:     hidden_global_offset_z
      - .offset:         104
        .size:           2
        .value_kind:     hidden_grid_dims
    .group_segment_fixed_size: 33792
    .kernarg_segment_align: 8
    .kernarg_segment_size: 296
    .language:       OpenCL C
    .language_version:
      - 2
      - 0
    .max_flat_workgroup_size: 1024
    .name:           _ZN2at4cuda3cub17final_scan_kernelILi512ELi16EfEEvPKT1_PS3_S6_li
    .private_segment_fixed_size: 0
    .sgpr_count:     60
    .sgpr_spill_count: 0
    .symbol:         _ZN2at4cuda3cub17final_scan_kernelILi512ELi16EfEEvPKT1_PS3_S6_li.kd
    .uniform_work_group_size: 1
    .uses_dynamic_stack: false
    .vgpr_count:     83
    .vgpr_spill_count: 0
    .wavefront_size: 64
  - .agpr_count:     0
    .args:
      - .address_space:  global
        .offset:         0
        .size:           8
        .value_kind:     global_buffer
      - .offset:         8
        .size:           4
        .value_kind:     by_value
      - .offset:         12
        .size:           4
        .value_kind:     by_value
      - .address_space:  global
        .offset:         16
        .size:           8
        .value_kind:     global_buffer
      - .offset:         24
        .size:           4
        .value_kind:     hidden_block_count_x
      - .offset:         28
        .size:           4
        .value_kind:     hidden_block_count_y
      - .offset:         32
        .size:           4
        .value_kind:     hidden_block_count_z
      - .offset:         36
        .size:           2
        .value_kind:     hidden_group_size_x
      - .offset:         38
        .size:           2
        .value_kind:     hidden_group_size_y
      - .offset:         40
        .size:           2
        .value_kind:     hidden_group_size_z
      - .offset:         42
        .size:           2
        .value_kind:     hidden_remainder_x
      - .offset:         44
        .size:           2
        .value_kind:     hidden_remainder_y
      - .offset:         46
        .size:           2
        .value_kind:     hidden_remainder_z
      - .offset:         64
        .size:           8
        .value_kind:     hidden_global_offset_x
      - .offset:         72
        .size:           8
        .value_kind:     hidden_global_offset_y
      - .offset:         80
        .size:           8
        .value_kind:     hidden_global_offset_z
      - .offset:         88
        .size:           2
        .value_kind:     hidden_grid_dims
    .group_segment_fixed_size: 0
    .kernarg_segment_align: 8
    .kernarg_segment_size: 280
    .language:       OpenCL C
    .language_version:
      - 2
      - 0
    .max_flat_workgroup_size: 256
    .name:           _ZN7rocprim17ROCPRIM_304000_NS6detail31init_lookback_scan_state_kernelINS1_19lookback_scan_stateIfLb1ELb1EEEEEvT_jjPNS5_10value_typeE
    .private_segment_fixed_size: 0
    .sgpr_count:     18
    .sgpr_spill_count: 0
    .symbol:         _ZN7rocprim17ROCPRIM_304000_NS6detail31init_lookback_scan_state_kernelINS1_19lookback_scan_stateIfLb1ELb1EEEEEvT_jjPNS5_10value_typeE.kd
    .uniform_work_group_size: 1
    .uses_dynamic_stack: false
    .vgpr_count:     6
    .vgpr_spill_count: 0
    .wavefront_size: 64
  - .agpr_count:     0
    .args:
      - .address_space:  global
        .offset:         0
        .size:           8
        .value_kind:     global_buffer
      - .offset:         8
        .size:           4
        .value_kind:     by_value
      - .offset:         12
        .size:           4
        .value_kind:     by_value
      - .address_space:  global
        .offset:         16
        .size:           8
        .value_kind:     global_buffer
      - .offset:         24
        .size:           4
        .value_kind:     hidden_block_count_x
      - .offset:         28
        .size:           4
        .value_kind:     hidden_block_count_y
      - .offset:         32
        .size:           4
        .value_kind:     hidden_block_count_z
      - .offset:         36
        .size:           2
        .value_kind:     hidden_group_size_x
      - .offset:         38
        .size:           2
        .value_kind:     hidden_group_size_y
      - .offset:         40
        .size:           2
        .value_kind:     hidden_group_size_z
      - .offset:         42
        .size:           2
        .value_kind:     hidden_remainder_x
      - .offset:         44
        .size:           2
        .value_kind:     hidden_remainder_y
      - .offset:         46
        .size:           2
        .value_kind:     hidden_remainder_z
      - .offset:         64
        .size:           8
        .value_kind:     hidden_global_offset_x
      - .offset:         72
        .size:           8
        .value_kind:     hidden_global_offset_y
      - .offset:         80
        .size:           8
        .value_kind:     hidden_global_offset_z
      - .offset:         88
        .size:           2
        .value_kind:     hidden_grid_dims
    .group_segment_fixed_size: 0
    .kernarg_segment_align: 8
    .kernarg_segment_size: 280
    .language:       OpenCL C
    .language_version:
      - 2
      - 0
    .max_flat_workgroup_size: 256
    .name:           _ZN7rocprim17ROCPRIM_304000_NS6detail31init_lookback_scan_state_kernelINS1_19lookback_scan_stateIfLb0ELb1EEEEEvT_jjPNS5_10value_typeE
    .private_segment_fixed_size: 0
    .sgpr_count:     16
    .sgpr_spill_count: 0
    .symbol:         _ZN7rocprim17ROCPRIM_304000_NS6detail31init_lookback_scan_state_kernelINS1_19lookback_scan_stateIfLb0ELb1EEEEEvT_jjPNS5_10value_typeE.kd
    .uniform_work_group_size: 1
    .uses_dynamic_stack: false
    .vgpr_count:     6
    .vgpr_spill_count: 0
    .wavefront_size: 64
  - .agpr_count:     0
    .args:
      - .address_space:  global
        .offset:         0
        .size:           8
        .value_kind:     global_buffer
      - .address_space:  global
        .offset:         8
        .size:           8
        .value_kind:     global_buffer
      - .offset:         16
        .size:           8
        .value_kind:     by_value
      - .offset:         24
        .size:           4
        .value_kind:     by_value
      - .offset:         28
        .size:           1
        .value_kind:     by_value
      - .address_space:  global
        .offset:         32
        .size:           8
        .value_kind:     global_buffer
      - .offset:         40
        .size:           4
        .value_kind:     by_value
      - .address_space:  global
        .offset:         48
        .size:           8
        .value_kind:     global_buffer
      - .address_space:  global
        .offset:         56
        .size:           8
        .value_kind:     global_buffer
      - .offset:         64
        .size:           1
        .value_kind:     by_value
      - .offset:         65
        .size:           1
        .value_kind:     by_value
    .group_segment_fixed_size: 0
    .kernarg_segment_align: 8
    .kernarg_segment_size: 68
    .language:       OpenCL C
    .language_version:
      - 2
      - 0
    .max_flat_workgroup_size: 256
    .name:           _ZN7rocprim17ROCPRIM_304000_NS6detail20lookback_scan_kernelILNS1_25lookback_scan_determinismE0ELb0ENS1_19wrapped_scan_configINS0_14default_configEfEEPKfPfSt4plusIfEffNS1_19lookback_scan_stateIfLb1ELb1EEEEEvT2_T3_mT5_T4_T7_jPT6_SK_bb
    .private_segment_fixed_size: 0
    .sgpr_count:     6
    .sgpr_spill_count: 0
    .symbol:         _ZN7rocprim17ROCPRIM_304000_NS6detail20lookback_scan_kernelILNS1_25lookback_scan_determinismE0ELb0ENS1_19wrapped_scan_configINS0_14default_configEfEEPKfPfSt4plusIfEffNS1_19lookback_scan_stateIfLb1ELb1EEEEEvT2_T3_mT5_T4_T7_jPT6_SK_bb.kd
    .uniform_work_group_size: 1
    .uses_dynamic_stack: false
    .vgpr_count:     0
    .vgpr_spill_count: 0
    .wavefront_size: 64
  - .agpr_count:     0
    .args:
      - .address_space:  global
        .offset:         0
        .size:           8
        .value_kind:     global_buffer
      - .address_space:  global
        .offset:         8
        .size:           8
        .value_kind:     global_buffer
      - .offset:         16
        .size:           8
        .value_kind:     by_value
      - .offset:         24
        .size:           4
        .value_kind:     by_value
      - .offset:         28
        .size:           1
        .value_kind:     by_value
      - .address_space:  global
        .offset:         32
        .size:           8
        .value_kind:     global_buffer
      - .offset:         40
        .size:           4
        .value_kind:     by_value
      - .address_space:  global
        .offset:         48
        .size:           8
        .value_kind:     global_buffer
      - .address_space:  global
        .offset:         56
        .size:           8
        .value_kind:     global_buffer
      - .offset:         64
        .size:           1
        .value_kind:     by_value
      - .offset:         65
        .size:           1
        .value_kind:     by_value
    .group_segment_fixed_size: 24576
    .kernarg_segment_align: 8
    .kernarg_segment_size: 68
    .language:       OpenCL C
    .language_version:
      - 2
      - 0
    .max_flat_workgroup_size: 256
    .name:           _ZN7rocprim17ROCPRIM_304000_NS6detail20lookback_scan_kernelILNS1_25lookback_scan_determinismE0ELb0ENS1_19wrapped_scan_configINS0_14default_configEfEEPKfPfSt4plusIfEffNS1_19lookback_scan_stateIfLb0ELb1EEEEEvT2_T3_mT5_T4_T7_jPT6_SK_bb
    .private_segment_fixed_size: 0
    .sgpr_count:     32
    .sgpr_spill_count: 0
    .symbol:         _ZN7rocprim17ROCPRIM_304000_NS6detail20lookback_scan_kernelILNS1_25lookback_scan_determinismE0ELb0ENS1_19wrapped_scan_configINS0_14default_configEfEEPKfPfSt4plusIfEffNS1_19lookback_scan_stateIfLb0ELb1EEEEEvT2_T3_mT5_T4_T7_jPT6_SK_bb.kd
    .uniform_work_group_size: 1
    .uses_dynamic_stack: false
    .vgpr_count:     56
    .vgpr_spill_count: 0
    .wavefront_size: 64
  - .agpr_count:     0
    .args:
      - .address_space:  global
        .offset:         0
        .size:           8
        .value_kind:     global_buffer
      - .offset:         8
        .size:           8
        .value_kind:     by_value
      - .address_space:  global
        .offset:         16
        .size:           8
        .value_kind:     global_buffer
      - .offset:         24
        .size:           1
        .value_kind:     by_value
      - .offset:         32
        .size:           4
        .value_kind:     hidden_block_count_x
      - .offset:         36
        .size:           4
        .value_kind:     hidden_block_count_y
      - .offset:         40
        .size:           4
        .value_kind:     hidden_block_count_z
      - .offset:         44
        .size:           2
        .value_kind:     hidden_group_size_x
      - .offset:         46
        .size:           2
        .value_kind:     hidden_group_size_y
      - .offset:         48
        .size:           2
        .value_kind:     hidden_group_size_z
      - .offset:         50
        .size:           2
        .value_kind:     hidden_remainder_x
      - .offset:         52
        .size:           2
        .value_kind:     hidden_remainder_y
      - .offset:         54
        .size:           2
        .value_kind:     hidden_remainder_z
      - .offset:         72
        .size:           8
        .value_kind:     hidden_global_offset_x
      - .offset:         80
        .size:           8
        .value_kind:     hidden_global_offset_y
      - .offset:         88
        .size:           8
        .value_kind:     hidden_global_offset_z
      - .offset:         96
        .size:           2
        .value_kind:     hidden_grid_dims
    .group_segment_fixed_size: 0
    .kernarg_segment_align: 8
    .kernarg_segment_size: 288
    .language:       OpenCL C
    .language_version:
      - 2
      - 0
    .max_flat_workgroup_size: 256
    .name:           _ZN7rocprim17ROCPRIM_304000_NS6detail16transform_kernelINS1_24wrapped_transform_configINS0_14default_configEfEEfPfS6_NS0_8identityIfEEEEvT1_mT2_T3_
    .private_segment_fixed_size: 0
    .sgpr_count:     20
    .sgpr_spill_count: 0
    .symbol:         _ZN7rocprim17ROCPRIM_304000_NS6detail16transform_kernelINS1_24wrapped_transform_configINS0_14default_configEfEEfPfS6_NS0_8identityIfEEEEvT1_mT2_T3_.kd
    .uniform_work_group_size: 1
    .uses_dynamic_stack: false
    .vgpr_count:     10
    .vgpr_spill_count: 0
    .wavefront_size: 64
  - .agpr_count:     0
    .args:
      - .address_space:  global
        .offset:         0
        .size:           8
        .value_kind:     global_buffer
      - .offset:         8
        .size:           8
        .value_kind:     by_value
      - .offset:         16
        .size:           4
        .value_kind:     by_value
      - .address_space:  global
        .offset:         24
        .size:           8
        .value_kind:     global_buffer
      - .offset:         32
        .size:           1
        .value_kind:     by_value
    .group_segment_fixed_size: 24576
    .kernarg_segment_align: 8
    .kernarg_segment_size: 36
    .language:       OpenCL C
    .language_version:
      - 2
      - 0
    .max_flat_workgroup_size: 256
    .name:           _ZN7rocprim17ROCPRIM_304000_NS6detail18single_scan_kernelILb0ENS1_19wrapped_scan_configINS0_14default_configEfEEPKfPfSt4plusIfEffEEvT1_mT4_T2_T3_
    .private_segment_fixed_size: 0
    .sgpr_count:     62
    .sgpr_spill_count: 0
    .symbol:         _ZN7rocprim17ROCPRIM_304000_NS6detail18single_scan_kernelILb0ENS1_19wrapped_scan_configINS0_14default_configEfEEPKfPfSt4plusIfEffEEvT1_mT4_T2_T3_.kd
    .uniform_work_group_size: 1
    .uses_dynamic_stack: false
    .vgpr_count:     37
    .vgpr_spill_count: 0
    .wavefront_size: 64
  - .agpr_count:     0
    .args:
      - .address_space:  global
        .offset:         0
        .size:           8
        .value_kind:     global_buffer
      - .address_space:  global
        .offset:         8
        .size:           8
        .value_kind:     global_buffer
      - .offset:         16
        .size:           4
        .value_kind:     by_value
      - .offset:         20
        .size:           4
        .value_kind:     by_value
      - .offset:         24
        .size:           4
        .value_kind:     by_value
      - .offset:         28
        .size:           4
        .value_kind:     by_value
      - .offset:         32
        .size:           1
        .value_kind:     by_value
      - .offset:         40
        .size:           4
        .value_kind:     hidden_block_count_x
      - .offset:         44
        .size:           4
        .value_kind:     hidden_block_count_y
      - .offset:         48
        .size:           4
        .value_kind:     hidden_block_count_z
      - .offset:         52
        .size:           2
        .value_kind:     hidden_group_size_x
      - .offset:         54
        .size:           2
        .value_kind:     hidden_group_size_y
      - .offset:         56
        .size:           2
        .value_kind:     hidden_group_size_z
      - .offset:         58
        .size:           2
        .value_kind:     hidden_remainder_x
      - .offset:         60
        .size:           2
        .value_kind:     hidden_remainder_y
      - .offset:         62
        .size:           2
        .value_kind:     hidden_remainder_z
      - .offset:         80
        .size:           8
        .value_kind:     hidden_global_offset_x
      - .offset:         88
        .size:           8
        .value_kind:     hidden_global_offset_y
      - .offset:         96
        .size:           8
        .value_kind:     hidden_global_offset_z
      - .offset:         104
        .size:           2
        .value_kind:     hidden_grid_dims
      - .offset:         160
        .size:           4
        .value_kind:     hidden_dynamic_lds_size
    .group_segment_fixed_size: 0
    .kernarg_segment_align: 8
    .kernarg_segment_size: 296
    .language:       OpenCL C
    .language_version:
      - 2
      - 0
    .max_flat_workgroup_size: 1024
    .name:           _ZN2at6native32tensor_kernel_scan_innermost_dimIfSt4plusIfEEEvPT_PKS4_jjjS4_T0_
    .private_segment_fixed_size: 0
    .sgpr_count:     40
    .sgpr_spill_count: 0
    .symbol:         _ZN2at6native32tensor_kernel_scan_innermost_dimIfSt4plusIfEEEvPT_PKS4_jjjS4_T0_.kd
    .uniform_work_group_size: 1
    .uses_dynamic_stack: false
    .vgpr_count:     24
    .vgpr_spill_count: 0
    .wavefront_size: 64
  - .agpr_count:     0
    .args:
      - .address_space:  global
        .offset:         0
        .size:           8
        .value_kind:     global_buffer
      - .address_space:  global
        .offset:         8
        .size:           8
        .value_kind:     global_buffer
      - .offset:         16
        .size:           4
        .value_kind:     by_value
      - .offset:         20
        .size:           4
        .value_kind:     by_value
      - .offset:         24
        .size:           4
        .value_kind:     by_value
      - .offset:         28
        .size:           4
        .value_kind:     by_value
      - .offset:         32
        .size:           1
        .value_kind:     by_value
      - .offset:         40
        .size:           4
        .value_kind:     hidden_block_count_x
      - .offset:         44
        .size:           4
        .value_kind:     hidden_block_count_y
      - .offset:         48
        .size:           4
        .value_kind:     hidden_block_count_z
      - .offset:         52
        .size:           2
        .value_kind:     hidden_group_size_x
      - .offset:         54
        .size:           2
        .value_kind:     hidden_group_size_y
      - .offset:         56
        .size:           2
        .value_kind:     hidden_group_size_z
      - .offset:         58
        .size:           2
        .value_kind:     hidden_remainder_x
      - .offset:         60
        .size:           2
        .value_kind:     hidden_remainder_y
      - .offset:         62
        .size:           2
        .value_kind:     hidden_remainder_z
      - .offset:         80
        .size:           8
        .value_kind:     hidden_global_offset_x
      - .offset:         88
        .size:           8
        .value_kind:     hidden_global_offset_y
      - .offset:         96
        .size:           8
        .value_kind:     hidden_global_offset_z
      - .offset:         104
        .size:           2
        .value_kind:     hidden_grid_dims
    .group_segment_fixed_size: 0
    .kernarg_segment_align: 8
    .kernarg_segment_size: 296
    .language:       OpenCL C
    .language_version:
      - 2
      - 0
    .max_flat_workgroup_size: 1024
    .name:           _ZN2at6native28tensor_kernel_scan_outer_dimIfjSt4plusIfEEEvPT_PKS4_jjjS4_T1_
    .private_segment_fixed_size: 0
    .sgpr_count:     36
    .sgpr_spill_count: 0
    .symbol:         _ZN2at6native28tensor_kernel_scan_outer_dimIfjSt4plusIfEEEvPT_PKS4_jjjS4_T1_.kd
    .uniform_work_group_size: 1
    .uses_dynamic_stack: false
    .vgpr_count:     9
    .vgpr_spill_count: 0
    .wavefront_size: 64
  - .agpr_count:     0
    .args:
      - .address_space:  global
        .offset:         0
        .size:           8
        .value_kind:     global_buffer
      - .address_space:  global
        .offset:         8
        .size:           8
        .value_kind:     global_buffer
      - .offset:         16
        .size:           4
        .value_kind:     by_value
      - .offset:         20
        .size:           4
        .value_kind:     by_value
      - .offset:         24
        .size:           4
        .value_kind:     by_value
      - .offset:         28
        .size:           4
        .value_kind:     by_value
      - .offset:         32
        .size:           1
        .value_kind:     by_value
      - .offset:         40
        .size:           4
        .value_kind:     hidden_block_count_x
      - .offset:         44
        .size:           4
        .value_kind:     hidden_block_count_y
      - .offset:         48
        .size:           4
        .value_kind:     hidden_block_count_z
      - .offset:         52
        .size:           2
        .value_kind:     hidden_group_size_x
      - .offset:         54
        .size:           2
        .value_kind:     hidden_group_size_y
      - .offset:         56
        .size:           2
        .value_kind:     hidden_group_size_z
      - .offset:         58
        .size:           2
        .value_kind:     hidden_remainder_x
      - .offset:         60
        .size:           2
        .value_kind:     hidden_remainder_y
      - .offset:         62
        .size:           2
        .value_kind:     hidden_remainder_z
      - .offset:         80
        .size:           8
        .value_kind:     hidden_global_offset_x
      - .offset:         88
        .size:           8
        .value_kind:     hidden_global_offset_y
      - .offset:         96
        .size:           8
        .value_kind:     hidden_global_offset_z
      - .offset:         104
        .size:           2
        .value_kind:     hidden_grid_dims
    .group_segment_fixed_size: 0
    .kernarg_segment_align: 8
    .kernarg_segment_size: 296
    .language:       OpenCL C
    .language_version:
      - 2
      - 0
    .max_flat_workgroup_size: 1024
    .name:           _ZN2at6native28tensor_kernel_scan_outer_dimIfmSt4plusIfEEEvPT_PKS4_jjjS4_T1_
    .private_segment_fixed_size: 0
    .sgpr_count:     35
    .sgpr_spill_count: 0
    .symbol:         _ZN2at6native28tensor_kernel_scan_outer_dimIfmSt4plusIfEEEvPT_PKS4_jjjS4_T1_.kd
    .uniform_work_group_size: 1
    .uses_dynamic_stack: false
    .vgpr_count:     9
    .vgpr_spill_count: 0
    .wavefront_size: 64
  - .agpr_count:     0
    .args:
      - .address_space:  global
        .offset:         0
        .size:           8
        .value_kind:     global_buffer
      - .address_space:  global
        .offset:         8
        .size:           8
        .value_kind:     global_buffer
      - .offset:         16
        .size:           8
        .value_kind:     by_value
      - .offset:         24
        .size:           4
        .value_kind:     by_value
    .group_segment_fixed_size: 32
    .kernarg_segment_align: 8
    .kernarg_segment_size: 28
    .language:       OpenCL C
    .language_version:
      - 2
      - 0
    .max_flat_workgroup_size: 1024
    .name:           _ZN2at4cuda3cub15calc_block_sumsILi128ELi16ELb0EN3c107complexIdEES5_EEvPKT2_PT3_li
    .private_segment_fixed_size: 0
    .sgpr_count:     27
    .sgpr_spill_count: 0
    .symbol:         _ZN2at4cuda3cub15calc_block_sumsILi128ELi16ELb0EN3c107complexIdEES5_EEvPKT2_PT3_li.kd
    .uniform_work_group_size: 1
    .uses_dynamic_stack: false
    .vgpr_count:     90
    .vgpr_spill_count: 0
    .wavefront_size: 64
  - .agpr_count:     0
    .args:
      - .address_space:  global
        .offset:         0
        .size:           8
        .value_kind:     global_buffer
      - .address_space:  global
        .offset:         8
        .size:           8
        .value_kind:     global_buffer
      - .address_space:  global
        .offset:         16
        .size:           8
        .value_kind:     global_buffer
      - .offset:         24
        .size:           8
        .value_kind:     by_value
      - .offset:         32
        .size:           4
        .value_kind:     by_value
      - .offset:         40
        .size:           4
        .value_kind:     hidden_block_count_x
      - .offset:         44
        .size:           4
        .value_kind:     hidden_block_count_y
      - .offset:         48
        .size:           4
        .value_kind:     hidden_block_count_z
      - .offset:         52
        .size:           2
        .value_kind:     hidden_group_size_x
      - .offset:         54
        .size:           2
        .value_kind:     hidden_group_size_y
      - .offset:         56
        .size:           2
        .value_kind:     hidden_group_size_z
      - .offset:         58
        .size:           2
        .value_kind:     hidden_remainder_x
      - .offset:         60
        .size:           2
        .value_kind:     hidden_remainder_y
      - .offset:         62
        .size:           2
        .value_kind:     hidden_remainder_z
      - .offset:         80
        .size:           8
        .value_kind:     hidden_global_offset_x
      - .offset:         88
        .size:           8
        .value_kind:     hidden_global_offset_y
      - .offset:         96
        .size:           8
        .value_kind:     hidden_global_offset_z
      - .offset:         104
        .size:           2
        .value_kind:     hidden_grid_dims
    .group_segment_fixed_size: 33792
    .kernarg_segment_align: 8
    .kernarg_segment_size: 296
    .language:       OpenCL C
    .language_version:
      - 2
      - 0
    .max_flat_workgroup_size: 1024
    .name:           _ZN2at4cuda3cub17final_scan_kernelILi128ELi16EN3c107complexIdEEEEvPKT1_PS6_S9_li
    .private_segment_fixed_size: 232
    .sgpr_count:     50
    .sgpr_spill_count: 0
    .symbol:         _ZN2at4cuda3cub17final_scan_kernelILi128ELi16EN3c107complexIdEEEEvPKT1_PS6_S9_li.kd
    .uniform_work_group_size: 1
    .uses_dynamic_stack: false
    .vgpr_count:     128
    .vgpr_spill_count: 71
    .wavefront_size: 64
  - .agpr_count:     0
    .args:
      - .offset:         0
        .size:           24
        .value_kind:     by_value
      - .offset:         24
        .size:           4
        .value_kind:     by_value
      - .offset:         28
        .size:           4
        .value_kind:     by_value
      - .address_space:  global
        .offset:         32
        .size:           8
        .value_kind:     global_buffer
      - .offset:         40
        .size:           4
        .value_kind:     hidden_block_count_x
      - .offset:         44
        .size:           4
        .value_kind:     hidden_block_count_y
      - .offset:         48
        .size:           4
        .value_kind:     hidden_block_count_z
      - .offset:         52
        .size:           2
        .value_kind:     hidden_group_size_x
      - .offset:         54
        .size:           2
        .value_kind:     hidden_group_size_y
      - .offset:         56
        .size:           2
        .value_kind:     hidden_group_size_z
      - .offset:         58
        .size:           2
        .value_kind:     hidden_remainder_x
      - .offset:         60
        .size:           2
        .value_kind:     hidden_remainder_y
      - .offset:         62
        .size:           2
        .value_kind:     hidden_remainder_z
      - .offset:         80
        .size:           8
        .value_kind:     hidden_global_offset_x
      - .offset:         88
        .size:           8
        .value_kind:     hidden_global_offset_y
      - .offset:         96
        .size:           8
        .value_kind:     hidden_global_offset_z
      - .offset:         104
        .size:           2
        .value_kind:     hidden_grid_dims
    .group_segment_fixed_size: 0
    .kernarg_segment_align: 8
    .kernarg_segment_size: 296
    .language:       OpenCL C
    .language_version:
      - 2
      - 0
    .max_flat_workgroup_size: 256
    .name:           _ZN7rocprim17ROCPRIM_304000_NS6detail31init_lookback_scan_state_kernelINS1_19lookback_scan_stateIN3c107complexIdEELb1ELb0EEEEEvT_jjPNS8_10value_typeE
    .private_segment_fixed_size: 0
    .sgpr_count:     24
    .sgpr_spill_count: 0
    .symbol:         _ZN7rocprim17ROCPRIM_304000_NS6detail31init_lookback_scan_state_kernelINS1_19lookback_scan_stateIN3c107complexIdEELb1ELb0EEEEEvT_jjPNS8_10value_typeE.kd
    .uniform_work_group_size: 1
    .uses_dynamic_stack: false
    .vgpr_count:     6
    .vgpr_spill_count: 0
    .wavefront_size: 64
  - .agpr_count:     0
    .args:
      - .offset:         0
        .size:           24
        .value_kind:     by_value
      - .offset:         24
        .size:           4
        .value_kind:     by_value
      - .offset:         28
        .size:           4
        .value_kind:     by_value
      - .address_space:  global
        .offset:         32
        .size:           8
        .value_kind:     global_buffer
      - .offset:         40
        .size:           4
        .value_kind:     hidden_block_count_x
      - .offset:         44
        .size:           4
        .value_kind:     hidden_block_count_y
      - .offset:         48
        .size:           4
        .value_kind:     hidden_block_count_z
      - .offset:         52
        .size:           2
        .value_kind:     hidden_group_size_x
      - .offset:         54
        .size:           2
        .value_kind:     hidden_group_size_y
      - .offset:         56
        .size:           2
        .value_kind:     hidden_group_size_z
      - .offset:         58
        .size:           2
        .value_kind:     hidden_remainder_x
      - .offset:         60
        .size:           2
        .value_kind:     hidden_remainder_y
      - .offset:         62
        .size:           2
        .value_kind:     hidden_remainder_z
      - .offset:         80
        .size:           8
        .value_kind:     hidden_global_offset_x
      - .offset:         88
        .size:           8
        .value_kind:     hidden_global_offset_y
      - .offset:         96
        .size:           8
        .value_kind:     hidden_global_offset_z
      - .offset:         104
        .size:           2
        .value_kind:     hidden_grid_dims
    .group_segment_fixed_size: 0
    .kernarg_segment_align: 8
    .kernarg_segment_size: 296
    .language:       OpenCL C
    .language_version:
      - 2
      - 0
    .max_flat_workgroup_size: 256
    .name:           _ZN7rocprim17ROCPRIM_304000_NS6detail31init_lookback_scan_state_kernelINS1_19lookback_scan_stateIN3c107complexIdEELb0ELb0EEEEEvT_jjPNS8_10value_typeE
    .private_segment_fixed_size: 0
    .sgpr_count:     22
    .sgpr_spill_count: 0
    .symbol:         _ZN7rocprim17ROCPRIM_304000_NS6detail31init_lookback_scan_state_kernelINS1_19lookback_scan_stateIN3c107complexIdEELb0ELb0EEEEEvT_jjPNS8_10value_typeE.kd
    .uniform_work_group_size: 1
    .uses_dynamic_stack: false
    .vgpr_count:     6
    .vgpr_spill_count: 0
    .wavefront_size: 64
  - .agpr_count:     0
    .args:
      - .address_space:  global
        .offset:         0
        .size:           8
        .value_kind:     global_buffer
      - .address_space:  global
        .offset:         8
        .size:           8
        .value_kind:     global_buffer
      - .offset:         16
        .size:           8
        .value_kind:     by_value
      - .offset:         32
        .size:           16
        .value_kind:     by_value
      - .offset:         48
        .size:           1
        .value_kind:     by_value
      - .offset:         56
        .size:           24
        .value_kind:     by_value
      - .offset:         80
        .size:           4
        .value_kind:     by_value
      - .address_space:  global
        .offset:         88
        .size:           8
        .value_kind:     global_buffer
      - .address_space:  global
        .offset:         96
        .size:           8
        .value_kind:     global_buffer
      - .offset:         104
        .size:           1
        .value_kind:     by_value
      - .offset:         105
        .size:           1
        .value_kind:     by_value
    .group_segment_fixed_size: 0
    .kernarg_segment_align: 16
    .kernarg_segment_size: 108
    .language:       OpenCL C
    .language_version:
      - 2
      - 0
    .max_flat_workgroup_size: 256
    .name:           _ZN7rocprim17ROCPRIM_304000_NS6detail20lookback_scan_kernelILNS1_25lookback_scan_determinismE0ELb0ENS1_19wrapped_scan_configINS0_14default_configEN3c107complexIdEEEEPKS8_PS8_St4plusIS8_ES8_S8_NS1_19lookback_scan_stateIS8_Lb1ELb0EEEEEvT2_T3_mT5_T4_T7_jPT6_SN_bb
    .private_segment_fixed_size: 0
    .sgpr_count:     6
    .sgpr_spill_count: 0
    .symbol:         _ZN7rocprim17ROCPRIM_304000_NS6detail20lookback_scan_kernelILNS1_25lookback_scan_determinismE0ELb0ENS1_19wrapped_scan_configINS0_14default_configEN3c107complexIdEEEEPKS8_PS8_St4plusIS8_ES8_S8_NS1_19lookback_scan_stateIS8_Lb1ELb0EEEEEvT2_T3_mT5_T4_T7_jPT6_SN_bb.kd
    .uniform_work_group_size: 1
    .uses_dynamic_stack: false
    .vgpr_count:     0
    .vgpr_spill_count: 0
    .wavefront_size: 64
  - .agpr_count:     0
    .args:
      - .address_space:  global
        .offset:         0
        .size:           8
        .value_kind:     global_buffer
      - .address_space:  global
        .offset:         8
        .size:           8
        .value_kind:     global_buffer
      - .offset:         16
        .size:           8
        .value_kind:     by_value
      - .offset:         32
        .size:           16
        .value_kind:     by_value
      - .offset:         48
        .size:           1
        .value_kind:     by_value
      - .offset:         56
        .size:           24
        .value_kind:     by_value
      - .offset:         80
        .size:           4
        .value_kind:     by_value
      - .address_space:  global
        .offset:         88
        .size:           8
        .value_kind:     global_buffer
      - .address_space:  global
        .offset:         96
        .size:           8
        .value_kind:     global_buffer
      - .offset:         104
        .size:           1
        .value_kind:     by_value
      - .offset:         105
        .size:           1
        .value_kind:     by_value
    .group_segment_fixed_size: 57344
    .kernarg_segment_align: 16
    .kernarg_segment_size: 108
    .language:       OpenCL C
    .language_version:
      - 2
      - 0
    .max_flat_workgroup_size: 256
    .name:           _ZN7rocprim17ROCPRIM_304000_NS6detail20lookback_scan_kernelILNS1_25lookback_scan_determinismE0ELb0ENS1_19wrapped_scan_configINS0_14default_configEN3c107complexIdEEEEPKS8_PS8_St4plusIS8_ES8_S8_NS1_19lookback_scan_stateIS8_Lb0ELb0EEEEEvT2_T3_mT5_T4_T7_jPT6_SN_bb
    .private_segment_fixed_size: 0
    .sgpr_count:     34
    .sgpr_spill_count: 0
    .symbol:         _ZN7rocprim17ROCPRIM_304000_NS6detail20lookback_scan_kernelILNS1_25lookback_scan_determinismE0ELb0ENS1_19wrapped_scan_configINS0_14default_configEN3c107complexIdEEEEPKS8_PS8_St4plusIS8_ES8_S8_NS1_19lookback_scan_stateIS8_Lb0ELb0EEEEEvT2_T3_mT5_T4_T7_jPT6_SN_bb.kd
    .uniform_work_group_size: 1
    .uses_dynamic_stack: false
    .vgpr_count:     128
    .vgpr_spill_count: 0
    .wavefront_size: 64
  - .agpr_count:     0
    .args:
      - .address_space:  global
        .offset:         0
        .size:           8
        .value_kind:     global_buffer
      - .offset:         8
        .size:           8
        .value_kind:     by_value
      - .address_space:  global
        .offset:         16
        .size:           8
        .value_kind:     global_buffer
      - .offset:         24
        .size:           1
        .value_kind:     by_value
      - .offset:         32
        .size:           4
        .value_kind:     hidden_block_count_x
      - .offset:         36
        .size:           4
        .value_kind:     hidden_block_count_y
      - .offset:         40
        .size:           4
        .value_kind:     hidden_block_count_z
      - .offset:         44
        .size:           2
        .value_kind:     hidden_group_size_x
      - .offset:         46
        .size:           2
        .value_kind:     hidden_group_size_y
      - .offset:         48
        .size:           2
        .value_kind:     hidden_group_size_z
      - .offset:         50
        .size:           2
        .value_kind:     hidden_remainder_x
      - .offset:         52
        .size:           2
        .value_kind:     hidden_remainder_y
      - .offset:         54
        .size:           2
        .value_kind:     hidden_remainder_z
      - .offset:         72
        .size:           8
        .value_kind:     hidden_global_offset_x
      - .offset:         80
        .size:           8
        .value_kind:     hidden_global_offset_y
      - .offset:         88
        .size:           8
        .value_kind:     hidden_global_offset_z
      - .offset:         96
        .size:           2
        .value_kind:     hidden_grid_dims
    .group_segment_fixed_size: 0
    .kernarg_segment_align: 8
    .kernarg_segment_size: 288
    .language:       OpenCL C
    .language_version:
      - 2
      - 0
    .max_flat_workgroup_size: 256
    .name:           _ZN7rocprim17ROCPRIM_304000_NS6detail16transform_kernelINS1_24wrapped_transform_configINS0_14default_configEN3c107complexIdEEEES7_PS7_S9_NS0_8identityIS7_EEEEvT1_mT2_T3_
    .private_segment_fixed_size: 0
    .sgpr_count:     16
    .sgpr_spill_count: 0
    .symbol:         _ZN7rocprim17ROCPRIM_304000_NS6detail16transform_kernelINS1_24wrapped_transform_configINS0_14default_configEN3c107complexIdEEEES7_PS7_S9_NS0_8identityIS7_EEEEvT1_mT2_T3_.kd
    .uniform_work_group_size: 1
    .uses_dynamic_stack: false
    .vgpr_count:     5
    .vgpr_spill_count: 0
    .wavefront_size: 64
  - .agpr_count:     0
    .args:
      - .address_space:  global
        .offset:         0
        .size:           8
        .value_kind:     global_buffer
      - .offset:         8
        .size:           8
        .value_kind:     by_value
      - .offset:         16
        .size:           16
        .value_kind:     by_value
      - .address_space:  global
        .offset:         32
        .size:           8
        .value_kind:     global_buffer
      - .offset:         40
        .size:           1
        .value_kind:     by_value
    .group_segment_fixed_size: 57344
    .kernarg_segment_align: 16
    .kernarg_segment_size: 44
    .language:       OpenCL C
    .language_version:
      - 2
      - 0
    .max_flat_workgroup_size: 256
    .name:           _ZN7rocprim17ROCPRIM_304000_NS6detail18single_scan_kernelILb0ENS1_19wrapped_scan_configINS0_14default_configEN3c107complexIdEEEEPKS7_PS7_St4plusIS7_ES7_S7_EEvT1_mT4_T2_T3_
    .private_segment_fixed_size: 0
    .sgpr_count:     46
    .sgpr_spill_count: 0
    .symbol:         _ZN7rocprim17ROCPRIM_304000_NS6detail18single_scan_kernelILb0ENS1_19wrapped_scan_configINS0_14default_configEN3c107complexIdEEEEPKS7_PS7_St4plusIS7_ES7_S7_EEvT1_mT4_T2_T3_.kd
    .uniform_work_group_size: 1
    .uses_dynamic_stack: false
    .vgpr_count:     126
    .vgpr_spill_count: 0
    .wavefront_size: 64
  - .agpr_count:     0
    .args:
      - .address_space:  global
        .offset:         0
        .size:           8
        .value_kind:     global_buffer
      - .address_space:  global
        .offset:         8
        .size:           8
        .value_kind:     global_buffer
      - .offset:         16
        .size:           4
        .value_kind:     by_value
      - .offset:         20
        .size:           4
        .value_kind:     by_value
      - .offset:         24
        .size:           4
        .value_kind:     by_value
      - .offset:         32
        .size:           16
        .value_kind:     by_value
      - .offset:         48
        .size:           1
        .value_kind:     by_value
      - .offset:         56
        .size:           4
        .value_kind:     hidden_block_count_x
      - .offset:         60
        .size:           4
        .value_kind:     hidden_block_count_y
      - .offset:         64
        .size:           4
        .value_kind:     hidden_block_count_z
      - .offset:         68
        .size:           2
        .value_kind:     hidden_group_size_x
      - .offset:         70
        .size:           2
        .value_kind:     hidden_group_size_y
      - .offset:         72
        .size:           2
        .value_kind:     hidden_group_size_z
      - .offset:         74
        .size:           2
        .value_kind:     hidden_remainder_x
      - .offset:         76
        .size:           2
        .value_kind:     hidden_remainder_y
      - .offset:         78
        .size:           2
        .value_kind:     hidden_remainder_z
      - .offset:         96
        .size:           8
        .value_kind:     hidden_global_offset_x
      - .offset:         104
        .size:           8
        .value_kind:     hidden_global_offset_y
      - .offset:         112
        .size:           8
        .value_kind:     hidden_global_offset_z
      - .offset:         120
        .size:           2
        .value_kind:     hidden_grid_dims
      - .offset:         176
        .size:           4
        .value_kind:     hidden_dynamic_lds_size
    .group_segment_fixed_size: 0
    .kernarg_segment_align: 16
    .kernarg_segment_size: 312
    .language:       OpenCL C
    .language_version:
      - 2
      - 0
    .max_flat_workgroup_size: 1024
    .name:           _ZN2at6native32tensor_kernel_scan_innermost_dimIN3c107complexIdEESt4plusIS4_EEEvPT_PKS7_jjjS7_T0_
    .private_segment_fixed_size: 0
    .sgpr_count:     43
    .sgpr_spill_count: 0
    .symbol:         _ZN2at6native32tensor_kernel_scan_innermost_dimIN3c107complexIdEESt4plusIS4_EEEvPT_PKS7_jjjS7_T0_.kd
    .uniform_work_group_size: 1
    .uses_dynamic_stack: false
    .vgpr_count:     28
    .vgpr_spill_count: 0
    .wavefront_size: 64
  - .agpr_count:     0
    .args:
      - .address_space:  global
        .offset:         0
        .size:           8
        .value_kind:     global_buffer
      - .address_space:  global
        .offset:         8
        .size:           8
        .value_kind:     global_buffer
      - .offset:         16
        .size:           4
        .value_kind:     by_value
      - .offset:         20
        .size:           4
        .value_kind:     by_value
      - .offset:         24
        .size:           4
        .value_kind:     by_value
      - .offset:         32
        .size:           16
        .value_kind:     by_value
      - .offset:         48
        .size:           1
        .value_kind:     by_value
      - .offset:         56
        .size:           4
        .value_kind:     hidden_block_count_x
      - .offset:         60
        .size:           4
        .value_kind:     hidden_block_count_y
      - .offset:         64
        .size:           4
        .value_kind:     hidden_block_count_z
      - .offset:         68
        .size:           2
        .value_kind:     hidden_group_size_x
      - .offset:         70
        .size:           2
        .value_kind:     hidden_group_size_y
      - .offset:         72
        .size:           2
        .value_kind:     hidden_group_size_z
      - .offset:         74
        .size:           2
        .value_kind:     hidden_remainder_x
      - .offset:         76
        .size:           2
        .value_kind:     hidden_remainder_y
      - .offset:         78
        .size:           2
        .value_kind:     hidden_remainder_z
      - .offset:         96
        .size:           8
        .value_kind:     hidden_global_offset_x
      - .offset:         104
        .size:           8
        .value_kind:     hidden_global_offset_y
      - .offset:         112
        .size:           8
        .value_kind:     hidden_global_offset_z
      - .offset:         120
        .size:           2
        .value_kind:     hidden_grid_dims
    .group_segment_fixed_size: 0
    .kernarg_segment_align: 16
    .kernarg_segment_size: 312
    .language:       OpenCL C
    .language_version:
      - 2
      - 0
    .max_flat_workgroup_size: 1024
    .name:           _ZN2at6native28tensor_kernel_scan_outer_dimIN3c107complexIdEEjSt4plusIS4_EEEvPT_PKS7_jjjS7_T1_
    .private_segment_fixed_size: 0
    .sgpr_count:     40
    .sgpr_spill_count: 0
    .symbol:         _ZN2at6native28tensor_kernel_scan_outer_dimIN3c107complexIdEEjSt4plusIS4_EEEvPT_PKS7_jjjS7_T1_.kd
    .uniform_work_group_size: 1
    .uses_dynamic_stack: false
    .vgpr_count:     16
    .vgpr_spill_count: 0
    .wavefront_size: 64
  - .agpr_count:     0
    .args:
      - .address_space:  global
        .offset:         0
        .size:           8
        .value_kind:     global_buffer
      - .address_space:  global
        .offset:         8
        .size:           8
        .value_kind:     global_buffer
      - .offset:         16
        .size:           4
        .value_kind:     by_value
      - .offset:         20
        .size:           4
        .value_kind:     by_value
      - .offset:         24
        .size:           4
        .value_kind:     by_value
      - .offset:         32
        .size:           16
        .value_kind:     by_value
      - .offset:         48
        .size:           1
        .value_kind:     by_value
      - .offset:         56
        .size:           4
        .value_kind:     hidden_block_count_x
      - .offset:         60
        .size:           4
        .value_kind:     hidden_block_count_y
      - .offset:         64
        .size:           4
        .value_kind:     hidden_block_count_z
      - .offset:         68
        .size:           2
        .value_kind:     hidden_group_size_x
      - .offset:         70
        .size:           2
        .value_kind:     hidden_group_size_y
      - .offset:         72
        .size:           2
        .value_kind:     hidden_group_size_z
      - .offset:         74
        .size:           2
        .value_kind:     hidden_remainder_x
      - .offset:         76
        .size:           2
        .value_kind:     hidden_remainder_y
      - .offset:         78
        .size:           2
        .value_kind:     hidden_remainder_z
      - .offset:         96
        .size:           8
        .value_kind:     hidden_global_offset_x
      - .offset:         104
        .size:           8
        .value_kind:     hidden_global_offset_y
      - .offset:         112
        .size:           8
        .value_kind:     hidden_global_offset_z
      - .offset:         120
        .size:           2
        .value_kind:     hidden_grid_dims
    .group_segment_fixed_size: 0
    .kernarg_segment_align: 16
    .kernarg_segment_size: 312
    .language:       OpenCL C
    .language_version:
      - 2
      - 0
    .max_flat_workgroup_size: 1024
    .name:           _ZN2at6native28tensor_kernel_scan_outer_dimIN3c107complexIdEEmSt4plusIS4_EEEvPT_PKS7_jjjS7_T1_
    .private_segment_fixed_size: 0
    .sgpr_count:     38
    .sgpr_spill_count: 0
    .symbol:         _ZN2at6native28tensor_kernel_scan_outer_dimIN3c107complexIdEEmSt4plusIS4_EEEvPT_PKS7_jjjS7_T1_.kd
    .uniform_work_group_size: 1
    .uses_dynamic_stack: false
    .vgpr_count:     16
    .vgpr_spill_count: 0
    .wavefront_size: 64
  - .agpr_count:     0
    .args:
      - .address_space:  global
        .offset:         0
        .size:           8
        .value_kind:     global_buffer
      - .address_space:  global
        .offset:         8
        .size:           8
        .value_kind:     global_buffer
      - .offset:         16
        .size:           8
        .value_kind:     by_value
      - .offset:         24
        .size:           4
        .value_kind:     by_value
    .group_segment_fixed_size: 32
    .kernarg_segment_align: 8
    .kernarg_segment_size: 28
    .language:       OpenCL C
    .language_version:
      - 2
      - 0
    .max_flat_workgroup_size: 1024
    .name:           _ZN2at4cuda3cub15calc_block_sumsILi256ELi16ELb0EN3c107complexIfEES5_EEvPKT2_PT3_li
    .private_segment_fixed_size: 0
    .sgpr_count:     21
    .sgpr_spill_count: 0
    .symbol:         _ZN2at4cuda3cub15calc_block_sumsILi256ELi16ELb0EN3c107complexIfEES5_EEvPKT2_PT3_li.kd
    .uniform_work_group_size: 1
    .uses_dynamic_stack: false
    .vgpr_count:     60
    .vgpr_spill_count: 0
    .wavefront_size: 64
  - .agpr_count:     0
    .args:
      - .address_space:  global
        .offset:         0
        .size:           8
        .value_kind:     global_buffer
      - .address_space:  global
        .offset:         8
        .size:           8
        .value_kind:     global_buffer
      - .address_space:  global
        .offset:         16
        .size:           8
        .value_kind:     global_buffer
      - .offset:         24
        .size:           8
        .value_kind:     by_value
      - .offset:         32
        .size:           4
        .value_kind:     by_value
      - .offset:         40
        .size:           4
        .value_kind:     hidden_block_count_x
      - .offset:         44
        .size:           4
        .value_kind:     hidden_block_count_y
      - .offset:         48
        .size:           4
        .value_kind:     hidden_block_count_z
      - .offset:         52
        .size:           2
        .value_kind:     hidden_group_size_x
      - .offset:         54
        .size:           2
        .value_kind:     hidden_group_size_y
      - .offset:         56
        .size:           2
        .value_kind:     hidden_group_size_z
      - .offset:         58
        .size:           2
        .value_kind:     hidden_remainder_x
      - .offset:         60
        .size:           2
        .value_kind:     hidden_remainder_y
      - .offset:         62
        .size:           2
        .value_kind:     hidden_remainder_z
      - .offset:         80
        .size:           8
        .value_kind:     hidden_global_offset_x
      - .offset:         88
        .size:           8
        .value_kind:     hidden_global_offset_y
      - .offset:         96
        .size:           8
        .value_kind:     hidden_global_offset_z
      - .offset:         104
        .size:           2
        .value_kind:     hidden_grid_dims
    .group_segment_fixed_size: 33792
    .kernarg_segment_align: 8
    .kernarg_segment_size: 296
    .language:       OpenCL C
    .language_version:
      - 2
      - 0
    .max_flat_workgroup_size: 1024
    .name:           _ZN2at4cuda3cub17final_scan_kernelILi256ELi16EN3c107complexIfEEEEvPKT1_PS6_S9_li
    .private_segment_fixed_size: 0
    .sgpr_count:     50
    .sgpr_spill_count: 0
    .symbol:         _ZN2at4cuda3cub17final_scan_kernelILi256ELi16EN3c107complexIfEEEEvPKT1_PS6_S9_li.kd
    .uniform_work_group_size: 1
    .uses_dynamic_stack: false
    .vgpr_count:     116
    .vgpr_spill_count: 0
    .wavefront_size: 64
  - .agpr_count:     0
    .args:
      - .address_space:  global
        .offset:         0
        .size:           8
        .value_kind:     global_buffer
      - .offset:         8
        .size:           4
        .value_kind:     by_value
      - .offset:         12
        .size:           4
        .value_kind:     by_value
      - .address_space:  global
        .offset:         16
        .size:           8
        .value_kind:     global_buffer
      - .offset:         24
        .size:           4
        .value_kind:     hidden_block_count_x
      - .offset:         28
        .size:           4
        .value_kind:     hidden_block_count_y
      - .offset:         32
        .size:           4
        .value_kind:     hidden_block_count_z
      - .offset:         36
        .size:           2
        .value_kind:     hidden_group_size_x
      - .offset:         38
        .size:           2
        .value_kind:     hidden_group_size_y
      - .offset:         40
        .size:           2
        .value_kind:     hidden_group_size_z
      - .offset:         42
        .size:           2
        .value_kind:     hidden_remainder_x
      - .offset:         44
        .size:           2
        .value_kind:     hidden_remainder_y
      - .offset:         46
        .size:           2
        .value_kind:     hidden_remainder_z
      - .offset:         64
        .size:           8
        .value_kind:     hidden_global_offset_x
      - .offset:         72
        .size:           8
        .value_kind:     hidden_global_offset_y
      - .offset:         80
        .size:           8
        .value_kind:     hidden_global_offset_z
      - .offset:         88
        .size:           2
        .value_kind:     hidden_grid_dims
    .group_segment_fixed_size: 0
    .kernarg_segment_align: 8
    .kernarg_segment_size: 280
    .language:       OpenCL C
    .language_version:
      - 2
      - 0
    .max_flat_workgroup_size: 256
    .name:           _ZN7rocprim17ROCPRIM_304000_NS6detail31init_lookback_scan_state_kernelINS1_19lookback_scan_stateIN3c107complexIfEELb1ELb1EEEEEvT_jjPNS8_10value_typeE
    .private_segment_fixed_size: 0
    .sgpr_count:     20
    .sgpr_spill_count: 0
    .symbol:         _ZN7rocprim17ROCPRIM_304000_NS6detail31init_lookback_scan_state_kernelINS1_19lookback_scan_stateIN3c107complexIfEELb1ELb1EEEEEvT_jjPNS8_10value_typeE.kd
    .uniform_work_group_size: 1
    .uses_dynamic_stack: false
    .vgpr_count:     10
    .vgpr_spill_count: 0
    .wavefront_size: 64
  - .agpr_count:     0
    .args:
      - .address_space:  global
        .offset:         0
        .size:           8
        .value_kind:     global_buffer
      - .offset:         8
        .size:           4
        .value_kind:     by_value
      - .offset:         12
        .size:           4
        .value_kind:     by_value
      - .address_space:  global
        .offset:         16
        .size:           8
        .value_kind:     global_buffer
      - .offset:         24
        .size:           4
        .value_kind:     hidden_block_count_x
      - .offset:         28
        .size:           4
        .value_kind:     hidden_block_count_y
      - .offset:         32
        .size:           4
        .value_kind:     hidden_block_count_z
      - .offset:         36
        .size:           2
        .value_kind:     hidden_group_size_x
      - .offset:         38
        .size:           2
        .value_kind:     hidden_group_size_y
      - .offset:         40
        .size:           2
        .value_kind:     hidden_group_size_z
      - .offset:         42
        .size:           2
        .value_kind:     hidden_remainder_x
      - .offset:         44
        .size:           2
        .value_kind:     hidden_remainder_y
      - .offset:         46
        .size:           2
        .value_kind:     hidden_remainder_z
      - .offset:         64
        .size:           8
        .value_kind:     hidden_global_offset_x
      - .offset:         72
        .size:           8
        .value_kind:     hidden_global_offset_y
      - .offset:         80
        .size:           8
        .value_kind:     hidden_global_offset_z
      - .offset:         88
        .size:           2
        .value_kind:     hidden_grid_dims
    .group_segment_fixed_size: 0
    .kernarg_segment_align: 8
    .kernarg_segment_size: 280
    .language:       OpenCL C
    .language_version:
      - 2
      - 0
    .max_flat_workgroup_size: 256
    .name:           _ZN7rocprim17ROCPRIM_304000_NS6detail31init_lookback_scan_state_kernelINS1_19lookback_scan_stateIN3c107complexIfEELb0ELb1EEEEEvT_jjPNS8_10value_typeE
    .private_segment_fixed_size: 0
    .sgpr_count:     20
    .sgpr_spill_count: 0
    .symbol:         _ZN7rocprim17ROCPRIM_304000_NS6detail31init_lookback_scan_state_kernelINS1_19lookback_scan_stateIN3c107complexIfEELb0ELb1EEEEEvT_jjPNS8_10value_typeE.kd
    .uniform_work_group_size: 1
    .uses_dynamic_stack: false
    .vgpr_count:     10
    .vgpr_spill_count: 0
    .wavefront_size: 64
  - .agpr_count:     0
    .args:
      - .address_space:  global
        .offset:         0
        .size:           8
        .value_kind:     global_buffer
      - .address_space:  global
        .offset:         8
        .size:           8
        .value_kind:     global_buffer
      - .offset:         16
        .size:           8
        .value_kind:     by_value
      - .offset:         24
        .size:           8
        .value_kind:     by_value
      - .offset:         32
        .size:           1
        .value_kind:     by_value
      - .address_space:  global
        .offset:         40
        .size:           8
        .value_kind:     global_buffer
      - .offset:         48
        .size:           4
        .value_kind:     by_value
      - .address_space:  global
        .offset:         56
        .size:           8
        .value_kind:     global_buffer
      - .address_space:  global
        .offset:         64
        .size:           8
        .value_kind:     global_buffer
      - .offset:         72
        .size:           1
        .value_kind:     by_value
      - .offset:         73
        .size:           1
        .value_kind:     by_value
    .group_segment_fixed_size: 0
    .kernarg_segment_align: 8
    .kernarg_segment_size: 76
    .language:       OpenCL C
    .language_version:
      - 2
      - 0
    .max_flat_workgroup_size: 256
    .name:           _ZN7rocprim17ROCPRIM_304000_NS6detail20lookback_scan_kernelILNS1_25lookback_scan_determinismE0ELb0ENS1_19wrapped_scan_configINS0_14default_configEN3c107complexIfEEEEPKS8_PS8_St4plusIS8_ES8_S8_NS1_19lookback_scan_stateIS8_Lb1ELb1EEEEEvT2_T3_mT5_T4_T7_jPT6_SN_bb
    .private_segment_fixed_size: 0
    .sgpr_count:     6
    .sgpr_spill_count: 0
    .symbol:         _ZN7rocprim17ROCPRIM_304000_NS6detail20lookback_scan_kernelILNS1_25lookback_scan_determinismE0ELb0ENS1_19wrapped_scan_configINS0_14default_configEN3c107complexIfEEEEPKS8_PS8_St4plusIS8_ES8_S8_NS1_19lookback_scan_stateIS8_Lb1ELb1EEEEEvT2_T3_mT5_T4_T7_jPT6_SN_bb.kd
    .uniform_work_group_size: 1
    .uses_dynamic_stack: false
    .vgpr_count:     0
    .vgpr_spill_count: 0
    .wavefront_size: 64
  - .agpr_count:     0
    .args:
      - .address_space:  global
        .offset:         0
        .size:           8
        .value_kind:     global_buffer
      - .address_space:  global
        .offset:         8
        .size:           8
        .value_kind:     global_buffer
      - .offset:         16
        .size:           8
        .value_kind:     by_value
      - .offset:         24
        .size:           8
        .value_kind:     by_value
      - .offset:         32
        .size:           1
        .value_kind:     by_value
      - .address_space:  global
        .offset:         40
        .size:           8
        .value_kind:     global_buffer
      - .offset:         48
        .size:           4
        .value_kind:     by_value
      - .address_space:  global
        .offset:         56
        .size:           8
        .value_kind:     global_buffer
      - .address_space:  global
        .offset:         64
        .size:           8
        .value_kind:     global_buffer
      - .offset:         72
        .size:           1
        .value_kind:     by_value
      - .offset:         73
        .size:           1
        .value_kind:     by_value
    .group_segment_fixed_size: 30720
    .kernarg_segment_align: 8
    .kernarg_segment_size: 76
    .language:       OpenCL C
    .language_version:
      - 2
      - 0
    .max_flat_workgroup_size: 256
    .name:           _ZN7rocprim17ROCPRIM_304000_NS6detail20lookback_scan_kernelILNS1_25lookback_scan_determinismE0ELb0ENS1_19wrapped_scan_configINS0_14default_configEN3c107complexIfEEEEPKS8_PS8_St4plusIS8_ES8_S8_NS1_19lookback_scan_stateIS8_Lb0ELb1EEEEEvT2_T3_mT5_T4_T7_jPT6_SN_bb
    .private_segment_fixed_size: 0
    .sgpr_count:     36
    .sgpr_spill_count: 0
    .symbol:         _ZN7rocprim17ROCPRIM_304000_NS6detail20lookback_scan_kernelILNS1_25lookback_scan_determinismE0ELb0ENS1_19wrapped_scan_configINS0_14default_configEN3c107complexIfEEEEPKS8_PS8_St4plusIS8_ES8_S8_NS1_19lookback_scan_stateIS8_Lb0ELb1EEEEEvT2_T3_mT5_T4_T7_jPT6_SN_bb.kd
    .uniform_work_group_size: 1
    .uses_dynamic_stack: false
    .vgpr_count:     77
    .vgpr_spill_count: 0
    .wavefront_size: 64
  - .agpr_count:     0
    .args:
      - .address_space:  global
        .offset:         0
        .size:           8
        .value_kind:     global_buffer
      - .offset:         8
        .size:           8
        .value_kind:     by_value
      - .address_space:  global
        .offset:         16
        .size:           8
        .value_kind:     global_buffer
      - .offset:         24
        .size:           1
        .value_kind:     by_value
      - .offset:         32
        .size:           4
        .value_kind:     hidden_block_count_x
      - .offset:         36
        .size:           4
        .value_kind:     hidden_block_count_y
      - .offset:         40
        .size:           4
        .value_kind:     hidden_block_count_z
      - .offset:         44
        .size:           2
        .value_kind:     hidden_group_size_x
      - .offset:         46
        .size:           2
        .value_kind:     hidden_group_size_y
      - .offset:         48
        .size:           2
        .value_kind:     hidden_group_size_z
      - .offset:         50
        .size:           2
        .value_kind:     hidden_remainder_x
      - .offset:         52
        .size:           2
        .value_kind:     hidden_remainder_y
      - .offset:         54
        .size:           2
        .value_kind:     hidden_remainder_z
      - .offset:         72
        .size:           8
        .value_kind:     hidden_global_offset_x
      - .offset:         80
        .size:           8
        .value_kind:     hidden_global_offset_y
      - .offset:         88
        .size:           8
        .value_kind:     hidden_global_offset_z
      - .offset:         96
        .size:           2
        .value_kind:     hidden_grid_dims
    .group_segment_fixed_size: 0
    .kernarg_segment_align: 8
    .kernarg_segment_size: 288
    .language:       OpenCL C
    .language_version:
      - 2
      - 0
    .max_flat_workgroup_size: 256
    .name:           _ZN7rocprim17ROCPRIM_304000_NS6detail16transform_kernelINS1_24wrapped_transform_configINS0_14default_configEN3c107complexIfEEEES7_PS7_S9_NS0_8identityIS7_EEEEvT1_mT2_T3_
    .private_segment_fixed_size: 0
    .sgpr_count:     18
    .sgpr_spill_count: 0
    .symbol:         _ZN7rocprim17ROCPRIM_304000_NS6detail16transform_kernelINS1_24wrapped_transform_configINS0_14default_configEN3c107complexIfEEEES7_PS7_S9_NS0_8identityIS7_EEEEvT1_mT2_T3_.kd
    .uniform_work_group_size: 1
    .uses_dynamic_stack: false
    .vgpr_count:     10
    .vgpr_spill_count: 0
    .wavefront_size: 64
  - .agpr_count:     0
    .args:
      - .address_space:  global
        .offset:         0
        .size:           8
        .value_kind:     global_buffer
      - .offset:         8
        .size:           8
        .value_kind:     by_value
      - .offset:         16
        .size:           8
        .value_kind:     by_value
      - .address_space:  global
        .offset:         24
        .size:           8
        .value_kind:     global_buffer
      - .offset:         32
        .size:           1
        .value_kind:     by_value
    .group_segment_fixed_size: 30720
    .kernarg_segment_align: 8
    .kernarg_segment_size: 36
    .language:       OpenCL C
    .language_version:
      - 2
      - 0
    .max_flat_workgroup_size: 256
    .name:           _ZN7rocprim17ROCPRIM_304000_NS6detail18single_scan_kernelILb0ENS1_19wrapped_scan_configINS0_14default_configEN3c107complexIfEEEEPKS7_PS7_St4plusIS7_ES7_S7_EEvT1_mT4_T2_T3_
    .private_segment_fixed_size: 0
    .sgpr_count:     44
    .sgpr_spill_count: 0
    .symbol:         _ZN7rocprim17ROCPRIM_304000_NS6detail18single_scan_kernelILb0ENS1_19wrapped_scan_configINS0_14default_configEN3c107complexIfEEEEPKS7_PS7_St4plusIS7_ES7_S7_EEvT1_mT4_T2_T3_.kd
    .uniform_work_group_size: 1
    .uses_dynamic_stack: false
    .vgpr_count:     76
    .vgpr_spill_count: 0
    .wavefront_size: 64
  - .agpr_count:     0
    .args:
      - .address_space:  global
        .offset:         0
        .size:           8
        .value_kind:     global_buffer
      - .address_space:  global
        .offset:         8
        .size:           8
        .value_kind:     global_buffer
      - .offset:         16
        .size:           4
        .value_kind:     by_value
      - .offset:         20
        .size:           4
        .value_kind:     by_value
      - .offset:         24
        .size:           4
        .value_kind:     by_value
      - .offset:         32
        .size:           8
        .value_kind:     by_value
      - .offset:         40
        .size:           1
        .value_kind:     by_value
      - .offset:         48
        .size:           4
        .value_kind:     hidden_block_count_x
      - .offset:         52
        .size:           4
        .value_kind:     hidden_block_count_y
      - .offset:         56
        .size:           4
        .value_kind:     hidden_block_count_z
      - .offset:         60
        .size:           2
        .value_kind:     hidden_group_size_x
      - .offset:         62
        .size:           2
        .value_kind:     hidden_group_size_y
      - .offset:         64
        .size:           2
        .value_kind:     hidden_group_size_z
      - .offset:         66
        .size:           2
        .value_kind:     hidden_remainder_x
      - .offset:         68
        .size:           2
        .value_kind:     hidden_remainder_y
      - .offset:         70
        .size:           2
        .value_kind:     hidden_remainder_z
      - .offset:         88
        .size:           8
        .value_kind:     hidden_global_offset_x
      - .offset:         96
        .size:           8
        .value_kind:     hidden_global_offset_y
      - .offset:         104
        .size:           8
        .value_kind:     hidden_global_offset_z
      - .offset:         112
        .size:           2
        .value_kind:     hidden_grid_dims
      - .offset:         168
        .size:           4
        .value_kind:     hidden_dynamic_lds_size
    .group_segment_fixed_size: 0
    .kernarg_segment_align: 8
    .kernarg_segment_size: 304
    .language:       OpenCL C
    .language_version:
      - 2
      - 0
    .max_flat_workgroup_size: 1024
    .name:           _ZN2at6native32tensor_kernel_scan_innermost_dimIN3c107complexIfEESt4plusIS4_EEEvPT_PKS7_jjjS7_T0_
    .private_segment_fixed_size: 0
    .sgpr_count:     41
    .sgpr_spill_count: 0
    .symbol:         _ZN2at6native32tensor_kernel_scan_innermost_dimIN3c107complexIfEESt4plusIS4_EEEvPT_PKS7_jjjS7_T0_.kd
    .uniform_work_group_size: 1
    .uses_dynamic_stack: false
    .vgpr_count:     24
    .vgpr_spill_count: 0
    .wavefront_size: 64
  - .agpr_count:     0
    .args:
      - .address_space:  global
        .offset:         0
        .size:           8
        .value_kind:     global_buffer
      - .address_space:  global
        .offset:         8
        .size:           8
        .value_kind:     global_buffer
      - .offset:         16
        .size:           4
        .value_kind:     by_value
      - .offset:         20
        .size:           4
        .value_kind:     by_value
      - .offset:         24
        .size:           4
        .value_kind:     by_value
      - .offset:         32
        .size:           8
        .value_kind:     by_value
      - .offset:         40
        .size:           1
        .value_kind:     by_value
      - .offset:         48
        .size:           4
        .value_kind:     hidden_block_count_x
      - .offset:         52
        .size:           4
        .value_kind:     hidden_block_count_y
      - .offset:         56
        .size:           4
        .value_kind:     hidden_block_count_z
      - .offset:         60
        .size:           2
        .value_kind:     hidden_group_size_x
      - .offset:         62
        .size:           2
        .value_kind:     hidden_group_size_y
      - .offset:         64
        .size:           2
        .value_kind:     hidden_group_size_z
      - .offset:         66
        .size:           2
        .value_kind:     hidden_remainder_x
      - .offset:         68
        .size:           2
        .value_kind:     hidden_remainder_y
      - .offset:         70
        .size:           2
        .value_kind:     hidden_remainder_z
      - .offset:         88
        .size:           8
        .value_kind:     hidden_global_offset_x
      - .offset:         96
        .size:           8
        .value_kind:     hidden_global_offset_y
      - .offset:         104
        .size:           8
        .value_kind:     hidden_global_offset_z
      - .offset:         112
        .size:           2
        .value_kind:     hidden_grid_dims
    .group_segment_fixed_size: 0
    .kernarg_segment_align: 8
    .kernarg_segment_size: 304
    .language:       OpenCL C
    .language_version:
      - 2
      - 0
    .max_flat_workgroup_size: 1024
    .name:           _ZN2at6native28tensor_kernel_scan_outer_dimIN3c107complexIfEEjSt4plusIS4_EEEvPT_PKS7_jjjS7_T1_
    .private_segment_fixed_size: 0
    .sgpr_count:     37
    .sgpr_spill_count: 0
    .symbol:         _ZN2at6native28tensor_kernel_scan_outer_dimIN3c107complexIfEEjSt4plusIS4_EEEvPT_PKS7_jjjS7_T1_.kd
    .uniform_work_group_size: 1
    .uses_dynamic_stack: false
    .vgpr_count:     12
    .vgpr_spill_count: 0
    .wavefront_size: 64
  - .agpr_count:     0
    .args:
      - .address_space:  global
        .offset:         0
        .size:           8
        .value_kind:     global_buffer
      - .address_space:  global
        .offset:         8
        .size:           8
        .value_kind:     global_buffer
      - .offset:         16
        .size:           4
        .value_kind:     by_value
      - .offset:         20
        .size:           4
        .value_kind:     by_value
      - .offset:         24
        .size:           4
        .value_kind:     by_value
      - .offset:         32
        .size:           8
        .value_kind:     by_value
      - .offset:         40
        .size:           1
        .value_kind:     by_value
      - .offset:         48
        .size:           4
        .value_kind:     hidden_block_count_x
      - .offset:         52
        .size:           4
        .value_kind:     hidden_block_count_y
      - .offset:         56
        .size:           4
        .value_kind:     hidden_block_count_z
      - .offset:         60
        .size:           2
        .value_kind:     hidden_group_size_x
      - .offset:         62
        .size:           2
        .value_kind:     hidden_group_size_y
      - .offset:         64
        .size:           2
        .value_kind:     hidden_group_size_z
      - .offset:         66
        .size:           2
        .value_kind:     hidden_remainder_x
      - .offset:         68
        .size:           2
        .value_kind:     hidden_remainder_y
      - .offset:         70
        .size:           2
        .value_kind:     hidden_remainder_z
      - .offset:         88
        .size:           8
        .value_kind:     hidden_global_offset_x
      - .offset:         96
        .size:           8
        .value_kind:     hidden_global_offset_y
      - .offset:         104
        .size:           8
        .value_kind:     hidden_global_offset_z
      - .offset:         112
        .size:           2
        .value_kind:     hidden_grid_dims
    .group_segment_fixed_size: 0
    .kernarg_segment_align: 8
    .kernarg_segment_size: 304
    .language:       OpenCL C
    .language_version:
      - 2
      - 0
    .max_flat_workgroup_size: 1024
    .name:           _ZN2at6native28tensor_kernel_scan_outer_dimIN3c107complexIfEEmSt4plusIS4_EEEvPT_PKS7_jjjS7_T1_
    .private_segment_fixed_size: 0
    .sgpr_count:     36
    .sgpr_spill_count: 0
    .symbol:         _ZN2at6native28tensor_kernel_scan_outer_dimIN3c107complexIfEEmSt4plusIS4_EEEvPT_PKS7_jjjS7_T1_.kd
    .uniform_work_group_size: 1
    .uses_dynamic_stack: false
    .vgpr_count:     12
    .vgpr_spill_count: 0
    .wavefront_size: 64
  - .agpr_count:     0
    .args:
      - .address_space:  global
        .offset:         0
        .size:           8
        .value_kind:     global_buffer
      - .address_space:  global
        .offset:         8
        .size:           8
        .value_kind:     global_buffer
      - .offset:         16
        .size:           8
        .value_kind:     by_value
      - .offset:         24
        .size:           4
        .value_kind:     by_value
    .group_segment_fixed_size: 16
    .kernarg_segment_align: 8
    .kernarg_segment_size: 28
    .language:       OpenCL C
    .language_version:
      - 2
      - 0
    .max_flat_workgroup_size: 1024
    .name:           _ZN2at4cuda3cub15calc_block_sumsILi512ELi16ELb0EN3c104HalfES4_EEvPKT2_PT3_li
    .private_segment_fixed_size: 0
    .sgpr_count:     21
    .sgpr_spill_count: 0
    .symbol:         _ZN2at4cuda3cub15calc_block_sumsILi512ELi16ELb0EN3c104HalfES4_EEvPKT2_PT3_li.kd
    .uniform_work_group_size: 1
    .uses_dynamic_stack: false
    .vgpr_count:     42
    .vgpr_spill_count: 0
    .wavefront_size: 64
  - .agpr_count:     0
    .args:
      - .address_space:  global
        .offset:         0
        .size:           8
        .value_kind:     global_buffer
      - .address_space:  global
        .offset:         8
        .size:           8
        .value_kind:     global_buffer
      - .address_space:  global
        .offset:         16
        .size:           8
        .value_kind:     global_buffer
      - .offset:         24
        .size:           8
        .value_kind:     by_value
      - .offset:         32
        .size:           4
        .value_kind:     by_value
      - .offset:         40
        .size:           4
        .value_kind:     hidden_block_count_x
      - .offset:         44
        .size:           4
        .value_kind:     hidden_block_count_y
      - .offset:         48
        .size:           4
        .value_kind:     hidden_block_count_z
      - .offset:         52
        .size:           2
        .value_kind:     hidden_group_size_x
      - .offset:         54
        .size:           2
        .value_kind:     hidden_group_size_y
      - .offset:         56
        .size:           2
        .value_kind:     hidden_group_size_z
      - .offset:         58
        .size:           2
        .value_kind:     hidden_remainder_x
      - .offset:         60
        .size:           2
        .value_kind:     hidden_remainder_y
      - .offset:         62
        .size:           2
        .value_kind:     hidden_remainder_z
      - .offset:         80
        .size:           8
        .value_kind:     hidden_global_offset_x
      - .offset:         88
        .size:           8
        .value_kind:     hidden_global_offset_y
      - .offset:         96
        .size:           8
        .value_kind:     hidden_global_offset_z
      - .offset:         104
        .size:           2
        .value_kind:     hidden_grid_dims
    .group_segment_fixed_size: 16896
    .kernarg_segment_align: 8
    .kernarg_segment_size: 296
    .language:       OpenCL C
    .language_version:
      - 2
      - 0
    .max_flat_workgroup_size: 1024
    .name:           _ZN2at4cuda3cub17final_scan_kernelILi512ELi16EN3c104HalfEEEvPKT1_PS5_S8_li
    .private_segment_fixed_size: 0
    .sgpr_count:     52
    .sgpr_spill_count: 0
    .symbol:         _ZN2at4cuda3cub17final_scan_kernelILi512ELi16EN3c104HalfEEEvPKT1_PS5_S8_li.kd
    .uniform_work_group_size: 1
    .uses_dynamic_stack: false
    .vgpr_count:     74
    .vgpr_spill_count: 0
    .wavefront_size: 64
  - .agpr_count:     0
    .args:
      - .address_space:  global
        .offset:         0
        .size:           8
        .value_kind:     global_buffer
      - .offset:         8
        .size:           4
        .value_kind:     by_value
      - .offset:         12
        .size:           4
        .value_kind:     by_value
      - .address_space:  global
        .offset:         16
        .size:           8
        .value_kind:     global_buffer
      - .offset:         24
        .size:           4
        .value_kind:     hidden_block_count_x
      - .offset:         28
        .size:           4
        .value_kind:     hidden_block_count_y
      - .offset:         32
        .size:           4
        .value_kind:     hidden_block_count_z
      - .offset:         36
        .size:           2
        .value_kind:     hidden_group_size_x
      - .offset:         38
        .size:           2
        .value_kind:     hidden_group_size_y
      - .offset:         40
        .size:           2
        .value_kind:     hidden_group_size_z
      - .offset:         42
        .size:           2
        .value_kind:     hidden_remainder_x
      - .offset:         44
        .size:           2
        .value_kind:     hidden_remainder_y
      - .offset:         46
        .size:           2
        .value_kind:     hidden_remainder_z
      - .offset:         64
        .size:           8
        .value_kind:     hidden_global_offset_x
      - .offset:         72
        .size:           8
        .value_kind:     hidden_global_offset_y
      - .offset:         80
        .size:           8
        .value_kind:     hidden_global_offset_z
      - .offset:         88
        .size:           2
        .value_kind:     hidden_grid_dims
    .group_segment_fixed_size: 0
    .kernarg_segment_align: 8
    .kernarg_segment_size: 280
    .language:       OpenCL C
    .language_version:
      - 2
      - 0
    .max_flat_workgroup_size: 256
    .name:           _ZN7rocprim17ROCPRIM_304000_NS6detail31init_lookback_scan_state_kernelINS1_19lookback_scan_stateIN3c104HalfELb1ELb1EEEEEvT_jjPNS7_10value_typeE
    .private_segment_fixed_size: 0
    .sgpr_count:     18
    .sgpr_spill_count: 0
    .symbol:         _ZN7rocprim17ROCPRIM_304000_NS6detail31init_lookback_scan_state_kernelINS1_19lookback_scan_stateIN3c104HalfELb1ELb1EEEEEvT_jjPNS7_10value_typeE.kd
    .uniform_work_group_size: 1
    .uses_dynamic_stack: false
    .vgpr_count:     6
    .vgpr_spill_count: 0
    .wavefront_size: 64
  - .agpr_count:     0
    .args:
      - .address_space:  global
        .offset:         0
        .size:           8
        .value_kind:     global_buffer
      - .offset:         8
        .size:           4
        .value_kind:     by_value
      - .offset:         12
        .size:           4
        .value_kind:     by_value
      - .address_space:  global
        .offset:         16
        .size:           8
        .value_kind:     global_buffer
      - .offset:         24
        .size:           4
        .value_kind:     hidden_block_count_x
      - .offset:         28
        .size:           4
        .value_kind:     hidden_block_count_y
      - .offset:         32
        .size:           4
        .value_kind:     hidden_block_count_z
      - .offset:         36
        .size:           2
        .value_kind:     hidden_group_size_x
      - .offset:         38
        .size:           2
        .value_kind:     hidden_group_size_y
      - .offset:         40
        .size:           2
        .value_kind:     hidden_group_size_z
      - .offset:         42
        .size:           2
        .value_kind:     hidden_remainder_x
      - .offset:         44
        .size:           2
        .value_kind:     hidden_remainder_y
      - .offset:         46
        .size:           2
        .value_kind:     hidden_remainder_z
      - .offset:         64
        .size:           8
        .value_kind:     hidden_global_offset_x
      - .offset:         72
        .size:           8
        .value_kind:     hidden_global_offset_y
      - .offset:         80
        .size:           8
        .value_kind:     hidden_global_offset_z
      - .offset:         88
        .size:           2
        .value_kind:     hidden_grid_dims
    .group_segment_fixed_size: 0
    .kernarg_segment_align: 8
    .kernarg_segment_size: 280
    .language:       OpenCL C
    .language_version:
      - 2
      - 0
    .max_flat_workgroup_size: 256
    .name:           _ZN7rocprim17ROCPRIM_304000_NS6detail31init_lookback_scan_state_kernelINS1_19lookback_scan_stateIN3c104HalfELb0ELb1EEEEEvT_jjPNS7_10value_typeE
    .private_segment_fixed_size: 0
    .sgpr_count:     16
    .sgpr_spill_count: 0
    .symbol:         _ZN7rocprim17ROCPRIM_304000_NS6detail31init_lookback_scan_state_kernelINS1_19lookback_scan_stateIN3c104HalfELb0ELb1EEEEEvT_jjPNS7_10value_typeE.kd
    .uniform_work_group_size: 1
    .uses_dynamic_stack: false
    .vgpr_count:     6
    .vgpr_spill_count: 0
    .wavefront_size: 64
  - .agpr_count:     0
    .args:
      - .address_space:  global
        .offset:         0
        .size:           8
        .value_kind:     global_buffer
      - .address_space:  global
        .offset:         8
        .size:           8
        .value_kind:     global_buffer
      - .offset:         16
        .size:           8
        .value_kind:     by_value
      - .offset:         24
        .size:           2
        .value_kind:     by_value
      - .offset:         26
        .size:           1
        .value_kind:     by_value
      - .address_space:  global
        .offset:         32
        .size:           8
        .value_kind:     global_buffer
      - .offset:         40
        .size:           4
        .value_kind:     by_value
      - .address_space:  global
        .offset:         48
        .size:           8
        .value_kind:     global_buffer
      - .address_space:  global
        .offset:         56
        .size:           8
        .value_kind:     global_buffer
      - .offset:         64
        .size:           1
        .value_kind:     by_value
      - .offset:         65
        .size:           1
        .value_kind:     by_value
    .group_segment_fixed_size: 0
    .kernarg_segment_align: 8
    .kernarg_segment_size: 68
    .language:       OpenCL C
    .language_version:
      - 2
      - 0
    .max_flat_workgroup_size: 256
    .name:           _ZN7rocprim17ROCPRIM_304000_NS6detail20lookback_scan_kernelILNS1_25lookback_scan_determinismE0ELb0ENS1_19wrapped_scan_configINS0_14default_configEN3c104HalfEEEPKS7_PS7_St4plusIS7_ES7_S7_NS1_19lookback_scan_stateIS7_Lb1ELb1EEEEEvT2_T3_mT5_T4_T7_jPT6_SM_bb
    .private_segment_fixed_size: 0
    .sgpr_count:     6
    .sgpr_spill_count: 0
    .symbol:         _ZN7rocprim17ROCPRIM_304000_NS6detail20lookback_scan_kernelILNS1_25lookback_scan_determinismE0ELb0ENS1_19wrapped_scan_configINS0_14default_configEN3c104HalfEEEPKS7_PS7_St4plusIS7_ES7_S7_NS1_19lookback_scan_stateIS7_Lb1ELb1EEEEEvT2_T3_mT5_T4_T7_jPT6_SM_bb.kd
    .uniform_work_group_size: 1
    .uses_dynamic_stack: false
    .vgpr_count:     0
    .vgpr_spill_count: 0
    .wavefront_size: 64
  - .agpr_count:     0
    .args:
      - .address_space:  global
        .offset:         0
        .size:           8
        .value_kind:     global_buffer
      - .address_space:  global
        .offset:         8
        .size:           8
        .value_kind:     global_buffer
      - .offset:         16
        .size:           8
        .value_kind:     by_value
      - .offset:         24
        .size:           2
        .value_kind:     by_value
      - .offset:         26
        .size:           1
        .value_kind:     by_value
      - .address_space:  global
        .offset:         32
        .size:           8
        .value_kind:     global_buffer
      - .offset:         40
        .size:           4
        .value_kind:     by_value
      - .address_space:  global
        .offset:         48
        .size:           8
        .value_kind:     global_buffer
      - .address_space:  global
        .offset:         56
        .size:           8
        .value_kind:     global_buffer
      - .offset:         64
        .size:           1
        .value_kind:     by_value
      - .offset:         65
        .size:           1
        .value_kind:     by_value
    .group_segment_fixed_size: 12288
    .kernarg_segment_align: 8
    .kernarg_segment_size: 68
    .language:       OpenCL C
    .language_version:
      - 2
      - 0
    .max_flat_workgroup_size: 256
    .name:           _ZN7rocprim17ROCPRIM_304000_NS6detail20lookback_scan_kernelILNS1_25lookback_scan_determinismE0ELb0ENS1_19wrapped_scan_configINS0_14default_configEN3c104HalfEEEPKS7_PS7_St4plusIS7_ES7_S7_NS1_19lookback_scan_stateIS7_Lb0ELb1EEEEEvT2_T3_mT5_T4_T7_jPT6_SM_bb
    .private_segment_fixed_size: 0
    .sgpr_count:     36
    .sgpr_spill_count: 0
    .symbol:         _ZN7rocprim17ROCPRIM_304000_NS6detail20lookback_scan_kernelILNS1_25lookback_scan_determinismE0ELb0ENS1_19wrapped_scan_configINS0_14default_configEN3c104HalfEEEPKS7_PS7_St4plusIS7_ES7_S7_NS1_19lookback_scan_stateIS7_Lb0ELb1EEEEEvT2_T3_mT5_T4_T7_jPT6_SM_bb.kd
    .uniform_work_group_size: 1
    .uses_dynamic_stack: false
    .vgpr_count:     55
    .vgpr_spill_count: 0
    .wavefront_size: 64
  - .agpr_count:     0
    .args:
      - .address_space:  global
        .offset:         0
        .size:           8
        .value_kind:     global_buffer
      - .offset:         8
        .size:           8
        .value_kind:     by_value
      - .address_space:  global
        .offset:         16
        .size:           8
        .value_kind:     global_buffer
      - .offset:         24
        .size:           1
        .value_kind:     by_value
      - .offset:         32
        .size:           4
        .value_kind:     hidden_block_count_x
      - .offset:         36
        .size:           4
        .value_kind:     hidden_block_count_y
      - .offset:         40
        .size:           4
        .value_kind:     hidden_block_count_z
      - .offset:         44
        .size:           2
        .value_kind:     hidden_group_size_x
      - .offset:         46
        .size:           2
        .value_kind:     hidden_group_size_y
      - .offset:         48
        .size:           2
        .value_kind:     hidden_group_size_z
      - .offset:         50
        .size:           2
        .value_kind:     hidden_remainder_x
      - .offset:         52
        .size:           2
        .value_kind:     hidden_remainder_y
      - .offset:         54
        .size:           2
        .value_kind:     hidden_remainder_z
      - .offset:         72
        .size:           8
        .value_kind:     hidden_global_offset_x
      - .offset:         80
        .size:           8
        .value_kind:     hidden_global_offset_y
      - .offset:         88
        .size:           8
        .value_kind:     hidden_global_offset_z
      - .offset:         96
        .size:           2
        .value_kind:     hidden_grid_dims
    .group_segment_fixed_size: 0
    .kernarg_segment_align: 8
    .kernarg_segment_size: 288
    .language:       OpenCL C
    .language_version:
      - 2
      - 0
    .max_flat_workgroup_size: 256
    .name:           _ZN7rocprim17ROCPRIM_304000_NS6detail16transform_kernelINS1_24wrapped_transform_configINS0_14default_configEN3c104HalfEEES6_PS6_S8_NS0_8identityIS6_EEEEvT1_mT2_T3_
    .private_segment_fixed_size: 0
    .sgpr_count:     26
    .sgpr_spill_count: 0
    .symbol:         _ZN7rocprim17ROCPRIM_304000_NS6detail16transform_kernelINS1_24wrapped_transform_configINS0_14default_configEN3c104HalfEEES6_PS6_S8_NS0_8identityIS6_EEEEvT1_mT2_T3_.kd
    .uniform_work_group_size: 1
    .uses_dynamic_stack: false
    .vgpr_count:     14
    .vgpr_spill_count: 0
    .wavefront_size: 64
  - .agpr_count:     0
    .args:
      - .address_space:  global
        .offset:         0
        .size:           8
        .value_kind:     global_buffer
      - .offset:         8
        .size:           8
        .value_kind:     by_value
      - .offset:         16
        .size:           2
        .value_kind:     by_value
      - .address_space:  global
        .offset:         24
        .size:           8
        .value_kind:     global_buffer
      - .offset:         32
        .size:           1
        .value_kind:     by_value
    .group_segment_fixed_size: 12288
    .kernarg_segment_align: 8
    .kernarg_segment_size: 36
    .language:       OpenCL C
    .language_version:
      - 2
      - 0
    .max_flat_workgroup_size: 256
    .name:           _ZN7rocprim17ROCPRIM_304000_NS6detail18single_scan_kernelILb0ENS1_19wrapped_scan_configINS0_14default_configEN3c104HalfEEEPKS6_PS6_St4plusIS6_ES6_S6_EEvT1_mT4_T2_T3_
    .private_segment_fixed_size: 0
    .sgpr_count:     60
    .sgpr_spill_count: 0
    .symbol:         _ZN7rocprim17ROCPRIM_304000_NS6detail18single_scan_kernelILb0ENS1_19wrapped_scan_configINS0_14default_configEN3c104HalfEEEPKS6_PS6_St4plusIS6_ES6_S6_EEvT1_mT4_T2_T3_.kd
    .uniform_work_group_size: 1
    .uses_dynamic_stack: false
    .vgpr_count:     31
    .vgpr_spill_count: 0
    .wavefront_size: 64
  - .agpr_count:     0
    .args:
      - .address_space:  global
        .offset:         0
        .size:           8
        .value_kind:     global_buffer
      - .address_space:  global
        .offset:         8
        .size:           8
        .value_kind:     global_buffer
      - .offset:         16
        .size:           4
        .value_kind:     by_value
      - .offset:         20
        .size:           4
        .value_kind:     by_value
      - .offset:         24
        .size:           4
        .value_kind:     by_value
      - .offset:         28
        .size:           2
        .value_kind:     by_value
      - .offset:         30
        .size:           1
        .value_kind:     by_value
      - .offset:         32
        .size:           4
        .value_kind:     hidden_block_count_x
      - .offset:         36
        .size:           4
        .value_kind:     hidden_block_count_y
      - .offset:         40
        .size:           4
        .value_kind:     hidden_block_count_z
      - .offset:         44
        .size:           2
        .value_kind:     hidden_group_size_x
      - .offset:         46
        .size:           2
        .value_kind:     hidden_group_size_y
      - .offset:         48
        .size:           2
        .value_kind:     hidden_group_size_z
      - .offset:         50
        .size:           2
        .value_kind:     hidden_remainder_x
      - .offset:         52
        .size:           2
        .value_kind:     hidden_remainder_y
      - .offset:         54
        .size:           2
        .value_kind:     hidden_remainder_z
      - .offset:         72
        .size:           8
        .value_kind:     hidden_global_offset_x
      - .offset:         80
        .size:           8
        .value_kind:     hidden_global_offset_y
      - .offset:         88
        .size:           8
        .value_kind:     hidden_global_offset_z
      - .offset:         96
        .size:           2
        .value_kind:     hidden_grid_dims
      - .offset:         152
        .size:           4
        .value_kind:     hidden_dynamic_lds_size
    .group_segment_fixed_size: 0
    .kernarg_segment_align: 8
    .kernarg_segment_size: 288
    .language:       OpenCL C
    .language_version:
      - 2
      - 0
    .max_flat_workgroup_size: 1024
    .name:           _ZN2at6native32tensor_kernel_scan_innermost_dimIN3c104HalfESt4plusIS3_EEEvPT_PKS6_jjjS6_T0_
    .private_segment_fixed_size: 0
    .sgpr_count:     40
    .sgpr_spill_count: 0
    .symbol:         _ZN2at6native32tensor_kernel_scan_innermost_dimIN3c104HalfESt4plusIS3_EEEvPT_PKS6_jjjS6_T0_.kd
    .uniform_work_group_size: 1
    .uses_dynamic_stack: false
    .vgpr_count:     24
    .vgpr_spill_count: 0
    .wavefront_size: 64
  - .agpr_count:     0
    .args:
      - .address_space:  global
        .offset:         0
        .size:           8
        .value_kind:     global_buffer
      - .address_space:  global
        .offset:         8
        .size:           8
        .value_kind:     global_buffer
      - .offset:         16
        .size:           4
        .value_kind:     by_value
      - .offset:         20
        .size:           4
        .value_kind:     by_value
      - .offset:         24
        .size:           4
        .value_kind:     by_value
      - .offset:         28
        .size:           2
        .value_kind:     by_value
      - .offset:         30
        .size:           1
        .value_kind:     by_value
      - .offset:         32
        .size:           4
        .value_kind:     hidden_block_count_x
      - .offset:         36
        .size:           4
        .value_kind:     hidden_block_count_y
      - .offset:         40
        .size:           4
        .value_kind:     hidden_block_count_z
      - .offset:         44
        .size:           2
        .value_kind:     hidden_group_size_x
      - .offset:         46
        .size:           2
        .value_kind:     hidden_group_size_y
      - .offset:         48
        .size:           2
        .value_kind:     hidden_group_size_z
      - .offset:         50
        .size:           2
        .value_kind:     hidden_remainder_x
      - .offset:         52
        .size:           2
        .value_kind:     hidden_remainder_y
      - .offset:         54
        .size:           2
        .value_kind:     hidden_remainder_z
      - .offset:         72
        .size:           8
        .value_kind:     hidden_global_offset_x
      - .offset:         80
        .size:           8
        .value_kind:     hidden_global_offset_y
      - .offset:         88
        .size:           8
        .value_kind:     hidden_global_offset_z
      - .offset:         96
        .size:           2
        .value_kind:     hidden_grid_dims
    .group_segment_fixed_size: 0
    .kernarg_segment_align: 8
    .kernarg_segment_size: 288
    .language:       OpenCL C
    .language_version:
      - 2
      - 0
    .max_flat_workgroup_size: 1024
    .name:           _ZN2at6native28tensor_kernel_scan_outer_dimIN3c104HalfEjSt4plusIS3_EEEvPT_PKS6_jjjS6_T1_
    .private_segment_fixed_size: 0
    .sgpr_count:     36
    .sgpr_spill_count: 0
    .symbol:         _ZN2at6native28tensor_kernel_scan_outer_dimIN3c104HalfEjSt4plusIS3_EEEvPT_PKS6_jjjS6_T1_.kd
    .uniform_work_group_size: 1
    .uses_dynamic_stack: false
    .vgpr_count:     9
    .vgpr_spill_count: 0
    .wavefront_size: 64
  - .agpr_count:     0
    .args:
      - .address_space:  global
        .offset:         0
        .size:           8
        .value_kind:     global_buffer
      - .address_space:  global
        .offset:         8
        .size:           8
        .value_kind:     global_buffer
      - .offset:         16
        .size:           4
        .value_kind:     by_value
      - .offset:         20
        .size:           4
        .value_kind:     by_value
      - .offset:         24
        .size:           4
        .value_kind:     by_value
      - .offset:         28
        .size:           2
        .value_kind:     by_value
      - .offset:         30
        .size:           1
        .value_kind:     by_value
      - .offset:         32
        .size:           4
        .value_kind:     hidden_block_count_x
      - .offset:         36
        .size:           4
        .value_kind:     hidden_block_count_y
      - .offset:         40
        .size:           4
        .value_kind:     hidden_block_count_z
      - .offset:         44
        .size:           2
        .value_kind:     hidden_group_size_x
      - .offset:         46
        .size:           2
        .value_kind:     hidden_group_size_y
      - .offset:         48
        .size:           2
        .value_kind:     hidden_group_size_z
      - .offset:         50
        .size:           2
        .value_kind:     hidden_remainder_x
      - .offset:         52
        .size:           2
        .value_kind:     hidden_remainder_y
      - .offset:         54
        .size:           2
        .value_kind:     hidden_remainder_z
      - .offset:         72
        .size:           8
        .value_kind:     hidden_global_offset_x
      - .offset:         80
        .size:           8
        .value_kind:     hidden_global_offset_y
      - .offset:         88
        .size:           8
        .value_kind:     hidden_global_offset_z
      - .offset:         96
        .size:           2
        .value_kind:     hidden_grid_dims
    .group_segment_fixed_size: 0
    .kernarg_segment_align: 8
    .kernarg_segment_size: 288
    .language:       OpenCL C
    .language_version:
      - 2
      - 0
    .max_flat_workgroup_size: 1024
    .name:           _ZN2at6native28tensor_kernel_scan_outer_dimIN3c104HalfEmSt4plusIS3_EEEvPT_PKS6_jjjS6_T1_
    .private_segment_fixed_size: 0
    .sgpr_count:     35
    .sgpr_spill_count: 0
    .symbol:         _ZN2at6native28tensor_kernel_scan_outer_dimIN3c104HalfEmSt4plusIS3_EEEvPT_PKS6_jjjS6_T1_.kd
    .uniform_work_group_size: 1
    .uses_dynamic_stack: false
    .vgpr_count:     9
    .vgpr_spill_count: 0
    .wavefront_size: 64
  - .agpr_count:     0
    .args:
      - .address_space:  global
        .offset:         0
        .size:           8
        .value_kind:     global_buffer
      - .address_space:  global
        .offset:         8
        .size:           8
        .value_kind:     global_buffer
      - .offset:         16
        .size:           8
        .value_kind:     by_value
      - .offset:         24
        .size:           4
        .value_kind:     by_value
    .group_segment_fixed_size: 16
    .kernarg_segment_align: 8
    .kernarg_segment_size: 28
    .language:       OpenCL C
    .language_version:
      - 2
      - 0
    .max_flat_workgroup_size: 1024
    .name:           _ZN2at4cuda3cub15calc_block_sumsILi512ELi16ELb0EN3c108BFloat16ES4_EEvPKT2_PT3_li
    .private_segment_fixed_size: 0
    .sgpr_count:     23
    .sgpr_spill_count: 0
    .symbol:         _ZN2at4cuda3cub15calc_block_sumsILi512ELi16ELb0EN3c108BFloat16ES4_EEvPKT2_PT3_li.kd
    .uniform_work_group_size: 1
    .uses_dynamic_stack: false
    .vgpr_count:     44
    .vgpr_spill_count: 0
    .wavefront_size: 64
  - .agpr_count:     0
    .args:
      - .address_space:  global
        .offset:         0
        .size:           8
        .value_kind:     global_buffer
      - .address_space:  global
        .offset:         8
        .size:           8
        .value_kind:     global_buffer
      - .address_space:  global
        .offset:         16
        .size:           8
        .value_kind:     global_buffer
      - .offset:         24
        .size:           8
        .value_kind:     by_value
      - .offset:         32
        .size:           4
        .value_kind:     by_value
      - .offset:         40
        .size:           4
        .value_kind:     hidden_block_count_x
      - .offset:         44
        .size:           4
        .value_kind:     hidden_block_count_y
      - .offset:         48
        .size:           4
        .value_kind:     hidden_block_count_z
      - .offset:         52
        .size:           2
        .value_kind:     hidden_group_size_x
      - .offset:         54
        .size:           2
        .value_kind:     hidden_group_size_y
      - .offset:         56
        .size:           2
        .value_kind:     hidden_group_size_z
      - .offset:         58
        .size:           2
        .value_kind:     hidden_remainder_x
      - .offset:         60
        .size:           2
        .value_kind:     hidden_remainder_y
      - .offset:         62
        .size:           2
        .value_kind:     hidden_remainder_z
      - .offset:         80
        .size:           8
        .value_kind:     hidden_global_offset_x
      - .offset:         88
        .size:           8
        .value_kind:     hidden_global_offset_y
      - .offset:         96
        .size:           8
        .value_kind:     hidden_global_offset_z
      - .offset:         104
        .size:           2
        .value_kind:     hidden_grid_dims
    .group_segment_fixed_size: 16896
    .kernarg_segment_align: 8
    .kernarg_segment_size: 296
    .language:       OpenCL C
    .language_version:
      - 2
      - 0
    .max_flat_workgroup_size: 1024
    .name:           _ZN2at4cuda3cub17final_scan_kernelILi512ELi16EN3c108BFloat16EEEvPKT1_PS5_S8_li
    .private_segment_fixed_size: 0
    .sgpr_count:     54
    .sgpr_spill_count: 0
    .symbol:         _ZN2at4cuda3cub17final_scan_kernelILi512ELi16EN3c108BFloat16EEEvPKT1_PS5_S8_li.kd
    .uniform_work_group_size: 1
    .uses_dynamic_stack: false
    .vgpr_count:     76
    .vgpr_spill_count: 0
    .wavefront_size: 64
  - .agpr_count:     0
    .args:
      - .address_space:  global
        .offset:         0
        .size:           8
        .value_kind:     global_buffer
      - .offset:         8
        .size:           4
        .value_kind:     by_value
      - .offset:         12
        .size:           4
        .value_kind:     by_value
      - .address_space:  global
        .offset:         16
        .size:           8
        .value_kind:     global_buffer
      - .offset:         24
        .size:           4
        .value_kind:     hidden_block_count_x
      - .offset:         28
        .size:           4
        .value_kind:     hidden_block_count_y
      - .offset:         32
        .size:           4
        .value_kind:     hidden_block_count_z
      - .offset:         36
        .size:           2
        .value_kind:     hidden_group_size_x
      - .offset:         38
        .size:           2
        .value_kind:     hidden_group_size_y
      - .offset:         40
        .size:           2
        .value_kind:     hidden_group_size_z
      - .offset:         42
        .size:           2
        .value_kind:     hidden_remainder_x
      - .offset:         44
        .size:           2
        .value_kind:     hidden_remainder_y
      - .offset:         46
        .size:           2
        .value_kind:     hidden_remainder_z
      - .offset:         64
        .size:           8
        .value_kind:     hidden_global_offset_x
      - .offset:         72
        .size:           8
        .value_kind:     hidden_global_offset_y
      - .offset:         80
        .size:           8
        .value_kind:     hidden_global_offset_z
      - .offset:         88
        .size:           2
        .value_kind:     hidden_grid_dims
    .group_segment_fixed_size: 0
    .kernarg_segment_align: 8
    .kernarg_segment_size: 280
    .language:       OpenCL C
    .language_version:
      - 2
      - 0
    .max_flat_workgroup_size: 256
    .name:           _ZN7rocprim17ROCPRIM_304000_NS6detail31init_lookback_scan_state_kernelINS1_19lookback_scan_stateIN3c108BFloat16ELb1ELb1EEEEEvT_jjPNS7_10value_typeE
    .private_segment_fixed_size: 0
    .sgpr_count:     18
    .sgpr_spill_count: 0
    .symbol:         _ZN7rocprim17ROCPRIM_304000_NS6detail31init_lookback_scan_state_kernelINS1_19lookback_scan_stateIN3c108BFloat16ELb1ELb1EEEEEvT_jjPNS7_10value_typeE.kd
    .uniform_work_group_size: 1
    .uses_dynamic_stack: false
    .vgpr_count:     6
    .vgpr_spill_count: 0
    .wavefront_size: 64
  - .agpr_count:     0
    .args:
      - .address_space:  global
        .offset:         0
        .size:           8
        .value_kind:     global_buffer
      - .offset:         8
        .size:           4
        .value_kind:     by_value
      - .offset:         12
        .size:           4
        .value_kind:     by_value
      - .address_space:  global
        .offset:         16
        .size:           8
        .value_kind:     global_buffer
      - .offset:         24
        .size:           4
        .value_kind:     hidden_block_count_x
      - .offset:         28
        .size:           4
        .value_kind:     hidden_block_count_y
      - .offset:         32
        .size:           4
        .value_kind:     hidden_block_count_z
      - .offset:         36
        .size:           2
        .value_kind:     hidden_group_size_x
      - .offset:         38
        .size:           2
        .value_kind:     hidden_group_size_y
      - .offset:         40
        .size:           2
        .value_kind:     hidden_group_size_z
      - .offset:         42
        .size:           2
        .value_kind:     hidden_remainder_x
      - .offset:         44
        .size:           2
        .value_kind:     hidden_remainder_y
      - .offset:         46
        .size:           2
        .value_kind:     hidden_remainder_z
      - .offset:         64
        .size:           8
        .value_kind:     hidden_global_offset_x
      - .offset:         72
        .size:           8
        .value_kind:     hidden_global_offset_y
      - .offset:         80
        .size:           8
        .value_kind:     hidden_global_offset_z
      - .offset:         88
        .size:           2
        .value_kind:     hidden_grid_dims
    .group_segment_fixed_size: 0
    .kernarg_segment_align: 8
    .kernarg_segment_size: 280
    .language:       OpenCL C
    .language_version:
      - 2
      - 0
    .max_flat_workgroup_size: 256
    .name:           _ZN7rocprim17ROCPRIM_304000_NS6detail31init_lookback_scan_state_kernelINS1_19lookback_scan_stateIN3c108BFloat16ELb0ELb1EEEEEvT_jjPNS7_10value_typeE
    .private_segment_fixed_size: 0
    .sgpr_count:     16
    .sgpr_spill_count: 0
    .symbol:         _ZN7rocprim17ROCPRIM_304000_NS6detail31init_lookback_scan_state_kernelINS1_19lookback_scan_stateIN3c108BFloat16ELb0ELb1EEEEEvT_jjPNS7_10value_typeE.kd
    .uniform_work_group_size: 1
    .uses_dynamic_stack: false
    .vgpr_count:     6
    .vgpr_spill_count: 0
    .wavefront_size: 64
  - .agpr_count:     0
    .args:
      - .address_space:  global
        .offset:         0
        .size:           8
        .value_kind:     global_buffer
      - .address_space:  global
        .offset:         8
        .size:           8
        .value_kind:     global_buffer
      - .offset:         16
        .size:           8
        .value_kind:     by_value
      - .offset:         24
        .size:           2
        .value_kind:     by_value
      - .offset:         26
        .size:           1
        .value_kind:     by_value
      - .address_space:  global
        .offset:         32
        .size:           8
        .value_kind:     global_buffer
      - .offset:         40
        .size:           4
        .value_kind:     by_value
      - .address_space:  global
        .offset:         48
        .size:           8
        .value_kind:     global_buffer
      - .address_space:  global
        .offset:         56
        .size:           8
        .value_kind:     global_buffer
      - .offset:         64
        .size:           1
        .value_kind:     by_value
      - .offset:         65
        .size:           1
        .value_kind:     by_value
    .group_segment_fixed_size: 0
    .kernarg_segment_align: 8
    .kernarg_segment_size: 68
    .language:       OpenCL C
    .language_version:
      - 2
      - 0
    .max_flat_workgroup_size: 256
    .name:           _ZN7rocprim17ROCPRIM_304000_NS6detail20lookback_scan_kernelILNS1_25lookback_scan_determinismE0ELb0ENS1_19wrapped_scan_configINS0_14default_configEN3c108BFloat16EEEPKS7_PS7_St4plusIS7_ES7_S7_NS1_19lookback_scan_stateIS7_Lb1ELb1EEEEEvT2_T3_mT5_T4_T7_jPT6_SM_bb
    .private_segment_fixed_size: 0
    .sgpr_count:     6
    .sgpr_spill_count: 0
    .symbol:         _ZN7rocprim17ROCPRIM_304000_NS6detail20lookback_scan_kernelILNS1_25lookback_scan_determinismE0ELb0ENS1_19wrapped_scan_configINS0_14default_configEN3c108BFloat16EEEPKS7_PS7_St4plusIS7_ES7_S7_NS1_19lookback_scan_stateIS7_Lb1ELb1EEEEEvT2_T3_mT5_T4_T7_jPT6_SM_bb.kd
    .uniform_work_group_size: 1
    .uses_dynamic_stack: false
    .vgpr_count:     0
    .vgpr_spill_count: 0
    .wavefront_size: 64
  - .agpr_count:     0
    .args:
      - .address_space:  global
        .offset:         0
        .size:           8
        .value_kind:     global_buffer
      - .address_space:  global
        .offset:         8
        .size:           8
        .value_kind:     global_buffer
      - .offset:         16
        .size:           8
        .value_kind:     by_value
      - .offset:         24
        .size:           2
        .value_kind:     by_value
      - .offset:         26
        .size:           1
        .value_kind:     by_value
      - .address_space:  global
        .offset:         32
        .size:           8
        .value_kind:     global_buffer
      - .offset:         40
        .size:           4
        .value_kind:     by_value
      - .address_space:  global
        .offset:         48
        .size:           8
        .value_kind:     global_buffer
      - .address_space:  global
        .offset:         56
        .size:           8
        .value_kind:     global_buffer
      - .offset:         64
        .size:           1
        .value_kind:     by_value
      - .offset:         65
        .size:           1
        .value_kind:     by_value
    .group_segment_fixed_size: 12288
    .kernarg_segment_align: 8
    .kernarg_segment_size: 68
    .language:       OpenCL C
    .language_version:
      - 2
      - 0
    .max_flat_workgroup_size: 256
    .name:           _ZN7rocprim17ROCPRIM_304000_NS6detail20lookback_scan_kernelILNS1_25lookback_scan_determinismE0ELb0ENS1_19wrapped_scan_configINS0_14default_configEN3c108BFloat16EEEPKS7_PS7_St4plusIS7_ES7_S7_NS1_19lookback_scan_stateIS7_Lb0ELb1EEEEEvT2_T3_mT5_T4_T7_jPT6_SM_bb
    .private_segment_fixed_size: 0
    .sgpr_count:     32
    .sgpr_spill_count: 0
    .symbol:         _ZN7rocprim17ROCPRIM_304000_NS6detail20lookback_scan_kernelILNS1_25lookback_scan_determinismE0ELb0ENS1_19wrapped_scan_configINS0_14default_configEN3c108BFloat16EEEPKS7_PS7_St4plusIS7_ES7_S7_NS1_19lookback_scan_stateIS7_Lb0ELb1EEEEEvT2_T3_mT5_T4_T7_jPT6_SM_bb.kd
    .uniform_work_group_size: 1
    .uses_dynamic_stack: false
    .vgpr_count:     69
    .vgpr_spill_count: 0
    .wavefront_size: 64
  - .agpr_count:     0
    .args:
      - .address_space:  global
        .offset:         0
        .size:           8
        .value_kind:     global_buffer
      - .offset:         8
        .size:           8
        .value_kind:     by_value
      - .address_space:  global
        .offset:         16
        .size:           8
        .value_kind:     global_buffer
      - .offset:         24
        .size:           1
        .value_kind:     by_value
      - .offset:         32
        .size:           4
        .value_kind:     hidden_block_count_x
      - .offset:         36
        .size:           4
        .value_kind:     hidden_block_count_y
      - .offset:         40
        .size:           4
        .value_kind:     hidden_block_count_z
      - .offset:         44
        .size:           2
        .value_kind:     hidden_group_size_x
      - .offset:         46
        .size:           2
        .value_kind:     hidden_group_size_y
      - .offset:         48
        .size:           2
        .value_kind:     hidden_group_size_z
      - .offset:         50
        .size:           2
        .value_kind:     hidden_remainder_x
      - .offset:         52
        .size:           2
        .value_kind:     hidden_remainder_y
      - .offset:         54
        .size:           2
        .value_kind:     hidden_remainder_z
      - .offset:         72
        .size:           8
        .value_kind:     hidden_global_offset_x
      - .offset:         80
        .size:           8
        .value_kind:     hidden_global_offset_y
      - .offset:         88
        .size:           8
        .value_kind:     hidden_global_offset_z
      - .offset:         96
        .size:           2
        .value_kind:     hidden_grid_dims
    .group_segment_fixed_size: 0
    .kernarg_segment_align: 8
    .kernarg_segment_size: 288
    .language:       OpenCL C
    .language_version:
      - 2
      - 0
    .max_flat_workgroup_size: 256
    .name:           _ZN7rocprim17ROCPRIM_304000_NS6detail16transform_kernelINS1_24wrapped_transform_configINS0_14default_configEN3c108BFloat16EEES6_PS6_S8_NS0_8identityIS6_EEEEvT1_mT2_T3_
    .private_segment_fixed_size: 0
    .sgpr_count:     26
    .sgpr_spill_count: 0
    .symbol:         _ZN7rocprim17ROCPRIM_304000_NS6detail16transform_kernelINS1_24wrapped_transform_configINS0_14default_configEN3c108BFloat16EEES6_PS6_S8_NS0_8identityIS6_EEEEvT1_mT2_T3_.kd
    .uniform_work_group_size: 1
    .uses_dynamic_stack: false
    .vgpr_count:     14
    .vgpr_spill_count: 0
    .wavefront_size: 64
  - .agpr_count:     0
    .args:
      - .address_space:  global
        .offset:         0
        .size:           8
        .value_kind:     global_buffer
      - .offset:         8
        .size:           8
        .value_kind:     by_value
      - .offset:         16
        .size:           2
        .value_kind:     by_value
      - .address_space:  global
        .offset:         24
        .size:           8
        .value_kind:     global_buffer
      - .offset:         32
        .size:           1
        .value_kind:     by_value
    .group_segment_fixed_size: 12288
    .kernarg_segment_align: 8
    .kernarg_segment_size: 36
    .language:       OpenCL C
    .language_version:
      - 2
      - 0
    .max_flat_workgroup_size: 256
    .name:           _ZN7rocprim17ROCPRIM_304000_NS6detail18single_scan_kernelILb0ENS1_19wrapped_scan_configINS0_14default_configEN3c108BFloat16EEEPKS6_PS6_St4plusIS6_ES6_S6_EEvT1_mT4_T2_T3_
    .private_segment_fixed_size: 0
    .sgpr_count:     62
    .sgpr_spill_count: 0
    .symbol:         _ZN7rocprim17ROCPRIM_304000_NS6detail18single_scan_kernelILb0ENS1_19wrapped_scan_configINS0_14default_configEN3c108BFloat16EEEPKS6_PS6_St4plusIS6_ES6_S6_EEvT1_mT4_T2_T3_.kd
    .uniform_work_group_size: 1
    .uses_dynamic_stack: false
    .vgpr_count:     36
    .vgpr_spill_count: 0
    .wavefront_size: 64
  - .agpr_count:     0
    .args:
      - .address_space:  global
        .offset:         0
        .size:           8
        .value_kind:     global_buffer
      - .address_space:  global
        .offset:         8
        .size:           8
        .value_kind:     global_buffer
      - .offset:         16
        .size:           4
        .value_kind:     by_value
      - .offset:         20
        .size:           4
        .value_kind:     by_value
      - .offset:         24
        .size:           4
        .value_kind:     by_value
      - .offset:         28
        .size:           2
        .value_kind:     by_value
      - .offset:         30
        .size:           1
        .value_kind:     by_value
      - .offset:         32
        .size:           4
        .value_kind:     hidden_block_count_x
      - .offset:         36
        .size:           4
        .value_kind:     hidden_block_count_y
      - .offset:         40
        .size:           4
        .value_kind:     hidden_block_count_z
      - .offset:         44
        .size:           2
        .value_kind:     hidden_group_size_x
      - .offset:         46
        .size:           2
        .value_kind:     hidden_group_size_y
      - .offset:         48
        .size:           2
        .value_kind:     hidden_group_size_z
      - .offset:         50
        .size:           2
        .value_kind:     hidden_remainder_x
      - .offset:         52
        .size:           2
        .value_kind:     hidden_remainder_y
      - .offset:         54
        .size:           2
        .value_kind:     hidden_remainder_z
      - .offset:         72
        .size:           8
        .value_kind:     hidden_global_offset_x
      - .offset:         80
        .size:           8
        .value_kind:     hidden_global_offset_y
      - .offset:         88
        .size:           8
        .value_kind:     hidden_global_offset_z
      - .offset:         96
        .size:           2
        .value_kind:     hidden_grid_dims
      - .offset:         152
        .size:           4
        .value_kind:     hidden_dynamic_lds_size
    .group_segment_fixed_size: 0
    .kernarg_segment_align: 8
    .kernarg_segment_size: 288
    .language:       OpenCL C
    .language_version:
      - 2
      - 0
    .max_flat_workgroup_size: 1024
    .name:           _ZN2at6native32tensor_kernel_scan_innermost_dimIN3c108BFloat16ESt4plusIS3_EEEvPT_PKS6_jjjS6_T0_
    .private_segment_fixed_size: 0
    .sgpr_count:     41
    .sgpr_spill_count: 0
    .symbol:         _ZN2at6native32tensor_kernel_scan_innermost_dimIN3c108BFloat16ESt4plusIS3_EEEvPT_PKS6_jjjS6_T0_.kd
    .uniform_work_group_size: 1
    .uses_dynamic_stack: false
    .vgpr_count:     27
    .vgpr_spill_count: 0
    .wavefront_size: 64
  - .agpr_count:     0
    .args:
      - .address_space:  global
        .offset:         0
        .size:           8
        .value_kind:     global_buffer
      - .address_space:  global
        .offset:         8
        .size:           8
        .value_kind:     global_buffer
      - .offset:         16
        .size:           4
        .value_kind:     by_value
      - .offset:         20
        .size:           4
        .value_kind:     by_value
      - .offset:         24
        .size:           4
        .value_kind:     by_value
      - .offset:         28
        .size:           2
        .value_kind:     by_value
      - .offset:         30
        .size:           1
        .value_kind:     by_value
      - .offset:         32
        .size:           4
        .value_kind:     hidden_block_count_x
      - .offset:         36
        .size:           4
        .value_kind:     hidden_block_count_y
      - .offset:         40
        .size:           4
        .value_kind:     hidden_block_count_z
      - .offset:         44
        .size:           2
        .value_kind:     hidden_group_size_x
      - .offset:         46
        .size:           2
        .value_kind:     hidden_group_size_y
      - .offset:         48
        .size:           2
        .value_kind:     hidden_group_size_z
      - .offset:         50
        .size:           2
        .value_kind:     hidden_remainder_x
      - .offset:         52
        .size:           2
        .value_kind:     hidden_remainder_y
      - .offset:         54
        .size:           2
        .value_kind:     hidden_remainder_z
      - .offset:         72
        .size:           8
        .value_kind:     hidden_global_offset_x
      - .offset:         80
        .size:           8
        .value_kind:     hidden_global_offset_y
      - .offset:         88
        .size:           8
        .value_kind:     hidden_global_offset_z
      - .offset:         96
        .size:           2
        .value_kind:     hidden_grid_dims
    .group_segment_fixed_size: 0
    .kernarg_segment_align: 8
    .kernarg_segment_size: 288
    .language:       OpenCL C
    .language_version:
      - 2
      - 0
    .max_flat_workgroup_size: 1024
    .name:           _ZN2at6native28tensor_kernel_scan_outer_dimIN3c108BFloat16EjSt4plusIS3_EEEvPT_PKS6_jjjS6_T1_
    .private_segment_fixed_size: 0
    .sgpr_count:     37
    .sgpr_spill_count: 0
    .symbol:         _ZN2at6native28tensor_kernel_scan_outer_dimIN3c108BFloat16EjSt4plusIS3_EEEvPT_PKS6_jjjS6_T1_.kd
    .uniform_work_group_size: 1
    .uses_dynamic_stack: false
    .vgpr_count:     10
    .vgpr_spill_count: 0
    .wavefront_size: 64
  - .agpr_count:     0
    .args:
      - .address_space:  global
        .offset:         0
        .size:           8
        .value_kind:     global_buffer
      - .address_space:  global
        .offset:         8
        .size:           8
        .value_kind:     global_buffer
      - .offset:         16
        .size:           4
        .value_kind:     by_value
      - .offset:         20
        .size:           4
        .value_kind:     by_value
      - .offset:         24
        .size:           4
        .value_kind:     by_value
      - .offset:         28
        .size:           2
        .value_kind:     by_value
      - .offset:         30
        .size:           1
        .value_kind:     by_value
      - .offset:         32
        .size:           4
        .value_kind:     hidden_block_count_x
      - .offset:         36
        .size:           4
        .value_kind:     hidden_block_count_y
      - .offset:         40
        .size:           4
        .value_kind:     hidden_block_count_z
      - .offset:         44
        .size:           2
        .value_kind:     hidden_group_size_x
      - .offset:         46
        .size:           2
        .value_kind:     hidden_group_size_y
      - .offset:         48
        .size:           2
        .value_kind:     hidden_group_size_z
      - .offset:         50
        .size:           2
        .value_kind:     hidden_remainder_x
      - .offset:         52
        .size:           2
        .value_kind:     hidden_remainder_y
      - .offset:         54
        .size:           2
        .value_kind:     hidden_remainder_z
      - .offset:         72
        .size:           8
        .value_kind:     hidden_global_offset_x
      - .offset:         80
        .size:           8
        .value_kind:     hidden_global_offset_y
      - .offset:         88
        .size:           8
        .value_kind:     hidden_global_offset_z
      - .offset:         96
        .size:           2
        .value_kind:     hidden_grid_dims
    .group_segment_fixed_size: 0
    .kernarg_segment_align: 8
    .kernarg_segment_size: 288
    .language:       OpenCL C
    .language_version:
      - 2
      - 0
    .max_flat_workgroup_size: 1024
    .name:           _ZN2at6native28tensor_kernel_scan_outer_dimIN3c108BFloat16EmSt4plusIS3_EEEvPT_PKS6_jjjS6_T1_
    .private_segment_fixed_size: 0
    .sgpr_count:     36
    .sgpr_spill_count: 0
    .symbol:         _ZN2at6native28tensor_kernel_scan_outer_dimIN3c108BFloat16EmSt4plusIS3_EEEvPT_PKS6_jjjS6_T1_.kd
    .uniform_work_group_size: 1
    .uses_dynamic_stack: false
    .vgpr_count:     10
    .vgpr_spill_count: 0
    .wavefront_size: 64
amdhsa.target:   amdgcn-amd-amdhsa--gfx942
amdhsa.version:
  - 1
  - 2
...

	.end_amdgpu_metadata
